;; amdgpu-corpus repo=ROCm/rocFFT kind=compiled arch=gfx950 opt=O3
	.text
	.amdgcn_target "amdgcn-amd-amdhsa--gfx950"
	.amdhsa_code_object_version 6
	.protected	fft_rtc_fwd_len169_factors_13_13_wgs_156_tpt_13_dp_op_CI_CI_sbcc_twdbase6_3step_dirReg_intrinsicReadWrite ; -- Begin function fft_rtc_fwd_len169_factors_13_13_wgs_156_tpt_13_dp_op_CI_CI_sbcc_twdbase6_3step_dirReg_intrinsicReadWrite
	.globl	fft_rtc_fwd_len169_factors_13_13_wgs_156_tpt_13_dp_op_CI_CI_sbcc_twdbase6_3step_dirReg_intrinsicReadWrite
	.p2align	8
	.type	fft_rtc_fwd_len169_factors_13_13_wgs_156_tpt_13_dp_op_CI_CI_sbcc_twdbase6_3step_dirReg_intrinsicReadWrite,@function
fft_rtc_fwd_len169_factors_13_13_wgs_156_tpt_13_dp_op_CI_CI_sbcc_twdbase6_3step_dirReg_intrinsicReadWrite: ; @fft_rtc_fwd_len169_factors_13_13_wgs_156_tpt_13_dp_op_CI_CI_sbcc_twdbase6_3step_dirReg_intrinsicReadWrite
; %bb.0:
	s_load_dwordx2 s[46:47], s[0:1], 0x0
	s_load_dwordx8 s[4:11], s[0:1], 0x8
	s_load_dwordx4 s[12:15], s[0:1], 0x60
	s_load_dwordx2 s[26:27], s[0:1], 0x28
	s_movk_i32 s0, 0xc0
	v_cmp_gt_u32_e32 vcc, s0, v0
	s_and_saveexec_b64 s[0:1], vcc
	s_cbranch_execz .LBB0_3
; %bb.1:
	s_movk_i32 s16, 0xff64
	v_mov_b32_e32 v1, 0
	s_mov_b32 s17, -1
	v_lshlrev_b32_e32 v6, 4, v0
	v_lshl_add_u64 v[2:3], v[0:1], 0, s[16:17]
	v_mov_b32_e32 v7, v1
	v_add_u32_e32 v1, 0, v6
	s_waitcnt lgkmcnt(0)
	v_lshl_add_u64 v[4:5], s[4:5], 0, v[6:7]
	v_add_u32_e32 v1, 0x7ec0, v1
	s_mov_b64 s[4:5], 0
	s_mov_b64 s[16:17], 0x9c
	;; [unrolled: 1-line block ×3, first 2 shown]
.LBB0_2:                                ; =>This Inner Loop Header: Depth=1
	global_load_dwordx4 v[6:9], v[4:5], off
	v_lshl_add_u64 v[2:3], v[2:3], 0, s[16:17]
	v_cmp_lt_u64_e32 vcc, 35, v[2:3]
	v_lshl_add_u64 v[4:5], v[4:5], 0, s[18:19]
	s_or_b64 s[4:5], vcc, s[4:5]
	s_waitcnt vmcnt(0)
	ds_write2_b64 v1, v[6:7], v[8:9] offset1:1
	v_add_u32_e32 v1, 0x9c0, v1
	s_andn2_b64 exec, exec, s[4:5]
	s_cbranch_execnz .LBB0_2
.LBB0_3:
	s_or_b64 exec, exec, s[0:1]
	s_waitcnt lgkmcnt(0)
	s_load_dwordx2 s[4:5], s[8:9], 0x8
	s_mov_b32 s3, 0
	s_mov_b64 s[24:25], 0
	s_waitcnt lgkmcnt(0)
	s_add_u32 s0, s4, -1
	s_addc_u32 s1, s5, -1
	s_add_u32 s16, 0, 0x55540000
	s_addc_u32 s17, 0, 0x55
	s_mul_hi_u32 s19, s16, -12
	s_add_i32 s17, s17, 0x15555500
	s_sub_i32 s19, s19, s16
	s_mul_i32 s22, s17, -12
	s_mul_i32 s18, s16, -12
	s_add_i32 s19, s19, s22
	s_mul_hi_u32 s20, s17, s18
	s_mul_i32 s21, s17, s18
	s_mul_i32 s23, s16, s19
	s_mul_hi_u32 s18, s16, s18
	s_mul_hi_u32 s22, s16, s19
	s_add_u32 s18, s18, s23
	s_addc_u32 s22, 0, s22
	s_add_u32 s18, s18, s21
	s_mul_hi_u32 s23, s17, s19
	s_addc_u32 s18, s22, s20
	s_addc_u32 s20, s23, 0
	s_mul_i32 s19, s17, s19
	s_add_u32 s18, s18, s19
	v_mov_b32_e32 v1, s18
	s_addc_u32 s19, 0, s20
	v_add_co_u32_e32 v1, vcc, s16, v1
	s_cmp_lg_u64 vcc, 0
	s_addc_u32 s16, s17, s19
	v_readfirstlane_b32 s19, v1
	s_mul_i32 s18, s0, s16
	s_mul_hi_u32 s20, s0, s19
	s_mul_hi_u32 s17, s0, s16
	s_add_u32 s18, s20, s18
	s_addc_u32 s17, 0, s17
	s_mul_hi_u32 s21, s1, s19
	s_mul_i32 s19, s1, s19
	s_add_u32 s18, s18, s19
	s_mul_hi_u32 s20, s1, s16
	s_addc_u32 s17, s17, s21
	s_addc_u32 s18, s20, 0
	s_mul_i32 s16, s1, s16
	s_add_u32 s16, s17, s16
	s_addc_u32 s17, 0, s18
	s_add_u32 s18, s16, 1
	s_addc_u32 s19, s17, 0
	s_add_u32 s20, s16, 2
	s_mul_i32 s22, s17, 12
	s_mul_hi_u32 s23, s16, 12
	s_addc_u32 s21, s17, 0
	s_add_i32 s23, s23, s22
	s_mul_i32 s22, s16, 12
	v_mov_b32_e32 v1, s22
	v_sub_co_u32_e32 v1, vcc, s0, v1
	s_cmp_lg_u64 vcc, 0
	s_subb_u32 s0, s1, s23
	v_subrev_co_u32_e32 v2, vcc, 12, v1
	s_cmp_lg_u64 vcc, 0
	s_subb_u32 s1, s0, 0
	v_readfirstlane_b32 s22, v2
	s_cmp_gt_u32 s22, 11
	s_cselect_b32 s22, -1, 0
	s_cmp_eq_u32 s1, 0
	s_cselect_b32 s1, s22, -1
	s_cmp_lg_u32 s1, 0
	s_cselect_b32 s1, s20, s18
	s_cselect_b32 s18, s21, s19
	v_readfirstlane_b32 s19, v1
	s_cmp_gt_u32 s19, 11
	s_cselect_b32 s19, -1, 0
	s_cmp_eq_u32 s0, 0
	s_cselect_b32 s0, s19, -1
	s_cmp_lg_u32 s0, 0
	s_cselect_b32 s1, s1, s16
	s_cselect_b32 s0, s18, s17
	s_add_u32 s28, s1, 1
	s_addc_u32 s29, s0, 0
	v_mov_b64_e32 v[2:3], s[28:29]
	v_cmp_lt_u64_e32 vcc, s[2:3], v[2:3]
	s_cbranch_vccnz .LBB0_5
; %bb.4:
	v_cvt_f32_u32_e32 v1, s28
	s_sub_i32 s0, 0, s28
	s_mov_b32 s25, s3
	v_rcp_iflag_f32_e32 v1, v1
	s_nop 0
	v_mul_f32_e32 v1, 0x4f7ffffe, v1
	v_cvt_u32_f32_e32 v1, v1
	s_nop 0
	v_readfirstlane_b32 s1, v1
	s_mul_i32 s0, s0, s1
	s_mul_hi_u32 s0, s1, s0
	s_add_i32 s1, s1, s0
	s_mul_hi_u32 s0, s2, s1
	s_mul_i32 s16, s0, s28
	s_sub_i32 s16, s2, s16
	s_add_i32 s1, s0, 1
	s_sub_i32 s17, s16, s28
	s_cmp_ge_u32 s16, s28
	s_cselect_b32 s0, s1, s0
	s_cselect_b32 s16, s17, s16
	s_add_i32 s1, s0, 1
	s_cmp_ge_u32 s16, s28
	s_cselect_b32 s24, s1, s0
.LBB0_5:
	s_mul_i32 s0, s24, s29
	s_mul_hi_u32 s1, s24, s28
	s_add_i32 s1, s1, s0
	s_mul_i32 s0, s24, s28
	s_load_dwordx4 s[20:23], s[10:11], 0x0
	s_load_dwordx4 s[16:19], s[26:27], 0x0
	s_sub_u32 s0, s2, s0
	s_subb_u32 s1, 0, s1
	s_mul_i32 s1, s1, 12
	s_waitcnt lgkmcnt(0)
	s_mul_hi_u32 s17, s0, 12
	s_add_i32 s31, s17, s1
	s_mul_i32 s30, s0, 12
	s_mul_i32 s0, s22, s31
	s_mul_hi_u32 s1, s22, s30
	s_add_i32 s0, s1, s0
	s_mul_i32 s1, s23, s30
	s_add_i32 s23, s0, s1
	s_mul_i32 s0, s18, s31
	s_mul_hi_u32 s1, s18, s30
	s_add_i32 s0, s1, s0
	s_mul_i32 s1, s19, s30
	s_add_i32 s19, s0, s1
	v_cmp_lt_u64_e64 s[0:1], s[6:7], 3
	s_mul_i32 s21, s22, s30
	s_mul_i32 s17, s18, s30
	s_and_b64 vcc, exec, s[0:1]
	s_cbranch_vccnz .LBB0_15
; %bb.6:
	s_add_u32 s34, s26, 16
	s_addc_u32 s35, s27, 0
	s_add_u32 s36, s10, 16
	s_addc_u32 s37, s11, 0
	;; [unrolled: 2-line block ×3, first 2 shown]
	s_mov_b64 s[38:39], 2
	s_mov_b32 s40, 0
	v_mov_b64_e32 v[2:3], s[6:7]
.LBB0_7:                                ; =>This Inner Loop Header: Depth=1
	s_load_dwordx2 s[42:43], s[8:9], 0x0
	s_waitcnt lgkmcnt(0)
	s_or_b64 s[0:1], s[24:25], s[42:43]
	s_mov_b32 s41, s1
	s_cmp_lg_u64 s[40:41], 0
	s_cbranch_scc0 .LBB0_12
; %bb.8:                                ;   in Loop: Header=BB0_7 Depth=1
	v_cvt_f32_u32_e32 v1, s42
	v_cvt_f32_u32_e32 v4, s43
	s_sub_u32 s0, 0, s42
	s_subb_u32 s1, 0, s43
	v_fmac_f32_e32 v1, 0x4f800000, v4
	v_rcp_f32_e32 v1, v1
	s_nop 0
	v_mul_f32_e32 v1, 0x5f7ffffc, v1
	v_mul_f32_e32 v4, 0x2f800000, v1
	v_trunc_f32_e32 v4, v4
	v_fmac_f32_e32 v1, 0xcf800000, v4
	v_cvt_u32_f32_e32 v4, v4
	v_cvt_u32_f32_e32 v1, v1
	v_readfirstlane_b32 s33, v4
	v_readfirstlane_b32 s41, v1
	s_mul_i32 s44, s0, s33
	s_mul_hi_u32 s48, s0, s41
	s_mul_i32 s45, s1, s41
	s_add_i32 s44, s48, s44
	s_mul_i32 s49, s0, s41
	s_add_i32 s44, s44, s45
	s_mul_hi_u32 s45, s41, s44
	s_mul_i32 s48, s41, s44
	s_mul_hi_u32 s41, s41, s49
	s_add_u32 s41, s41, s48
	s_addc_u32 s45, 0, s45
	s_mul_hi_u32 s50, s33, s49
	s_mul_i32 s49, s33, s49
	s_add_u32 s41, s41, s49
	s_mul_hi_u32 s48, s33, s44
	s_addc_u32 s41, s45, s50
	s_addc_u32 s45, s48, 0
	s_mul_i32 s44, s33, s44
	s_add_u32 s41, s41, s44
	s_addc_u32 s44, 0, s45
	v_add_co_u32_e32 v1, vcc, s41, v1
	s_cmp_lg_u64 vcc, 0
	s_addc_u32 s33, s33, s44
	v_readfirstlane_b32 s44, v1
	s_mul_i32 s41, s0, s33
	s_mul_hi_u32 s45, s0, s44
	s_add_i32 s41, s45, s41
	s_mul_i32 s1, s1, s44
	s_add_i32 s41, s41, s1
	s_mul_i32 s0, s0, s44
	s_mul_hi_u32 s45, s33, s0
	s_mul_i32 s48, s33, s0
	s_mul_i32 s50, s44, s41
	s_mul_hi_u32 s0, s44, s0
	s_mul_hi_u32 s49, s44, s41
	s_add_u32 s0, s0, s50
	s_addc_u32 s44, 0, s49
	s_add_u32 s0, s0, s48
	s_mul_hi_u32 s1, s33, s41
	s_addc_u32 s0, s44, s45
	s_addc_u32 s1, s1, 0
	s_mul_i32 s41, s33, s41
	s_add_u32 s0, s0, s41
	s_addc_u32 s1, 0, s1
	v_add_co_u32_e32 v1, vcc, s0, v1
	s_cmp_lg_u64 vcc, 0
	s_addc_u32 s0, s33, s1
	v_readfirstlane_b32 s41, v1
	s_mul_i32 s33, s24, s0
	s_mul_hi_u32 s44, s24, s41
	s_mul_hi_u32 s1, s24, s0
	s_add_u32 s33, s44, s33
	s_addc_u32 s1, 0, s1
	s_mul_hi_u32 s45, s25, s41
	s_mul_i32 s41, s25, s41
	s_add_u32 s33, s33, s41
	s_mul_hi_u32 s44, s25, s0
	s_addc_u32 s1, s1, s45
	s_addc_u32 s33, s44, 0
	s_mul_i32 s0, s25, s0
	s_add_u32 s41, s1, s0
	s_addc_u32 s33, 0, s33
	s_mul_i32 s0, s42, s33
	s_mul_hi_u32 s1, s42, s41
	s_add_i32 s0, s1, s0
	s_mul_i32 s1, s43, s41
	s_add_i32 s44, s0, s1
	s_mul_i32 s1, s42, s41
	v_mov_b32_e32 v1, s1
	s_sub_i32 s0, s25, s44
	v_sub_co_u32_e32 v1, vcc, s24, v1
	s_cmp_lg_u64 vcc, 0
	s_subb_u32 s45, s0, s43
	v_subrev_co_u32_e64 v4, s[0:1], s42, v1
	s_cmp_lg_u64 s[0:1], 0
	s_subb_u32 s0, s45, 0
	s_cmp_ge_u32 s0, s43
	v_readfirstlane_b32 s45, v4
	s_cselect_b32 s1, -1, 0
	s_cmp_ge_u32 s45, s42
	s_cselect_b32 s45, -1, 0
	s_cmp_eq_u32 s0, s43
	s_cselect_b32 s0, s45, s1
	s_add_u32 s1, s41, 1
	s_addc_u32 s45, s33, 0
	s_add_u32 s48, s41, 2
	s_addc_u32 s49, s33, 0
	s_cmp_lg_u32 s0, 0
	s_cselect_b32 s0, s48, s1
	s_cselect_b32 s1, s49, s45
	s_cmp_lg_u64 vcc, 0
	s_subb_u32 s44, s25, s44
	s_cmp_ge_u32 s44, s43
	v_readfirstlane_b32 s48, v1
	s_cselect_b32 s45, -1, 0
	s_cmp_ge_u32 s48, s42
	s_cselect_b32 s48, -1, 0
	s_cmp_eq_u32 s44, s43
	s_cselect_b32 s44, s48, s45
	s_cmp_lg_u32 s44, 0
	s_cselect_b32 s1, s1, s33
	s_cselect_b32 s0, s0, s41
	s_cbranch_execnz .LBB0_10
.LBB0_9:                                ;   in Loop: Header=BB0_7 Depth=1
	v_cvt_f32_u32_e32 v1, s42
	s_sub_i32 s0, 0, s42
	v_rcp_iflag_f32_e32 v1, v1
	s_nop 0
	v_mul_f32_e32 v1, 0x4f7ffffe, v1
	v_cvt_u32_f32_e32 v1, v1
	s_nop 0
	v_readfirstlane_b32 s1, v1
	s_mul_i32 s0, s0, s1
	s_mul_hi_u32 s0, s1, s0
	s_add_i32 s1, s1, s0
	s_mul_hi_u32 s0, s24, s1
	s_mul_i32 s33, s0, s42
	s_sub_i32 s33, s24, s33
	s_add_i32 s1, s0, 1
	s_sub_i32 s41, s33, s42
	s_cmp_ge_u32 s33, s42
	s_cselect_b32 s0, s1, s0
	s_cselect_b32 s33, s41, s33
	s_add_i32 s1, s0, 1
	s_cmp_ge_u32 s33, s42
	s_cselect_b32 s0, s1, s0
	s_mov_b32 s1, s40
.LBB0_10:                               ;   in Loop: Header=BB0_7 Depth=1
	s_mul_i32 s29, s42, s29
	s_mul_hi_u32 s33, s42, s28
	s_add_i32 s29, s33, s29
	s_mul_i32 s33, s43, s28
	s_add_i32 s29, s29, s33
	s_mul_i32 s33, s0, s43
	s_mul_hi_u32 s41, s0, s42
	s_load_dwordx2 s[44:45], s[36:37], 0x0
	s_add_i32 s33, s41, s33
	s_mul_i32 s41, s1, s42
	s_add_i32 s33, s33, s41
	s_mul_i32 s41, s0, s42
	s_sub_u32 s41, s24, s41
	s_subb_u32 s33, s25, s33
	s_waitcnt lgkmcnt(0)
	s_mul_i32 s24, s44, s33
	s_mul_hi_u32 s25, s44, s41
	s_mul_i32 s28, s42, s28
	s_add_i32 s42, s25, s24
	s_load_dwordx2 s[24:25], s[34:35], 0x0
	s_mul_i32 s43, s45, s41
	s_add_i32 s42, s42, s43
	s_mul_i32 s43, s44, s41
	s_add_u32 s21, s43, s21
	s_addc_u32 s23, s42, s23
	s_waitcnt lgkmcnt(0)
	s_mul_i32 s33, s24, s33
	s_mul_hi_u32 s42, s24, s41
	s_add_i32 s33, s42, s33
	s_mul_i32 s25, s25, s41
	s_add_i32 s33, s33, s25
	s_mul_i32 s24, s24, s41
	s_add_u32 s17, s24, s17
	s_addc_u32 s19, s33, s19
	s_add_u32 s38, s38, 1
	s_addc_u32 s39, s39, 0
	;; [unrolled: 2-line block ×4, first 2 shown]
	s_add_u32 s8, s8, 8
	v_cmp_ge_u64_e32 vcc, s[38:39], v[2:3]
	s_addc_u32 s9, s9, 0
	s_cbranch_vccnz .LBB0_13
; %bb.11:                               ;   in Loop: Header=BB0_7 Depth=1
	s_mov_b64 s[24:25], s[0:1]
	s_branch .LBB0_7
.LBB0_12:                               ;   in Loop: Header=BB0_7 Depth=1
                                        ; implicit-def: $sgpr0_sgpr1
	s_branch .LBB0_9
.LBB0_13:
	v_mov_b64_e32 v[2:3], s[28:29]
	v_cmp_lt_u64_e32 vcc, s[2:3], v[2:3]
	s_mov_b64 s[24:25], 0
	s_cbranch_vccnz .LBB0_15
; %bb.14:
	v_cvt_f32_u32_e32 v1, s28
	s_sub_i32 s0, 0, s28
	v_rcp_iflag_f32_e32 v1, v1
	s_nop 0
	v_mul_f32_e32 v1, 0x4f7ffffe, v1
	v_cvt_u32_f32_e32 v1, v1
	s_nop 0
	v_readfirstlane_b32 s1, v1
	s_mul_i32 s0, s0, s1
	s_mul_hi_u32 s0, s1, s0
	s_add_i32 s1, s1, s0
	s_mul_hi_u32 s0, s2, s1
	s_mul_i32 s3, s0, s28
	s_sub_i32 s2, s2, s3
	s_add_i32 s1, s0, 1
	s_sub_i32 s3, s2, s28
	s_cmp_ge_u32 s2, s28
	s_cselect_b32 s0, s1, s0
	s_cselect_b32 s2, s3, s2
	s_add_i32 s1, s0, 1
	s_cmp_ge_u32 s2, s28
	s_cselect_b32 s24, s1, s0
.LBB0_15:
	s_lshl_b64 s[0:1], s[6:7], 3
	s_add_u32 s2, s10, s0
	s_addc_u32 s3, s11, s1
	s_load_dwordx2 s[2:3], s[2:3], 0x0
	s_waitcnt lgkmcnt(0)
	s_mov_b32 s3, 0x15555556
	v_mul_hi_u32 v1, v0, s3
	v_mul_u32_u24_e32 v2, 12, v1
	v_sub_u32_e32 v60, v0, v2
	s_mul_i32 s2, s2, s24
	s_add_u32 s2, s2, s21
	s_add_u32 s48, s26, s0
	s_addc_u32 s49, s27, s1
	s_add_u32 s0, s30, 12
	v_mov_b32_e32 v61, 0
	s_addc_u32 s1, s31, 0
	v_mov_b64_e32 v[2:3], s[4:5]
	v_lshl_add_u64 v[166:167], s[30:31], 0, v[60:61]
	v_cmp_le_u64_e32 vcc, s[0:1], v[2:3]
	v_mad_u64_u32 v[6:7], s[0:1], s22, v60, 0
	v_cmp_gt_u64_e64 s[0:1], s[4:5], v[166:167]
	v_mov_b64_e32 v[44:45], 0
	s_or_b64 s[50:51], vcc, s[0:1]
	v_mov_b64_e32 v[4:5], v[44:45]
	v_mov_b64_e32 v[2:3], v[44:45]
	s_and_saveexec_b64 s[0:1], s[50:51]
	s_cbranch_execz .LBB0_17
; %bb.16:
	v_mul_lo_u32 v2, s20, v1
	v_add3_u32 v2, s2, v6, v2
	v_mov_b32_e32 v3, v61
	v_lshl_add_u64 v[2:3], v[2:3], 4, s[12:13]
	global_load_dwordx4 v[2:5], v[2:3], off
.LBB0_17:
	s_or_b64 exec, exec, s[0:1]
	v_mov_b64_e32 v[42:43], v[44:45]
	s_and_saveexec_b64 s[0:1], s[50:51]
	s_cbranch_execz .LBB0_19
; %bb.18:
	v_add_u32_e32 v7, 13, v1
	v_mul_lo_u32 v7, s20, v7
	v_add3_u32 v8, s2, v6, v7
	v_mov_b32_e32 v9, 0
	v_lshl_add_u64 v[8:9], v[8:9], 4, s[12:13]
	global_load_dwordx4 v[42:45], v[8:9], off
.LBB0_19:
	s_or_b64 exec, exec, s[0:1]
	v_mov_b64_e32 v[28:29], 0
	v_mov_b64_e32 v[36:37], v[28:29]
	v_mov_b64_e32 v[34:35], v[28:29]
	s_and_saveexec_b64 s[0:1], s[50:51]
	s_cbranch_execz .LBB0_21
; %bb.20:
	v_add_u32_e32 v7, 26, v1
	v_mul_lo_u32 v7, s20, v7
	v_add3_u32 v8, s2, v6, v7
	v_mov_b32_e32 v9, 0
	v_lshl_add_u64 v[8:9], v[8:9], 4, s[12:13]
	global_load_dwordx4 v[34:37], v[8:9], off
.LBB0_21:
	s_or_b64 exec, exec, s[0:1]
	v_mov_b64_e32 v[26:27], v[28:29]
	s_and_saveexec_b64 s[0:1], s[50:51]
	s_cbranch_execz .LBB0_23
; %bb.22:
	v_add_u32_e32 v7, 39, v1
	v_mul_lo_u32 v7, s20, v7
	v_add3_u32 v8, s2, v6, v7
	v_mov_b32_e32 v9, 0
	v_lshl_add_u64 v[8:9], v[8:9], 4, s[12:13]
	global_load_dwordx4 v[26:29], v[8:9], off
.LBB0_23:
	s_or_b64 exec, exec, s[0:1]
	v_mov_b64_e32 v[20:21], 0
	v_mov_b64_e32 v[24:25], v[20:21]
	v_mov_b64_e32 v[22:23], v[20:21]
	s_and_saveexec_b64 s[0:1], s[50:51]
	s_cbranch_execz .LBB0_25
; %bb.24:
	v_add_u32_e32 v7, 52, v1
	v_mul_lo_u32 v7, s20, v7
	v_add3_u32 v8, s2, v6, v7
	v_mov_b32_e32 v9, 0
	v_lshl_add_u64 v[8:9], v[8:9], 4, s[12:13]
	global_load_dwordx4 v[22:25], v[8:9], off
.LBB0_25:
	;; [unrolled: 26-line block ×5, first 2 shown]
	s_or_b64 exec, exec, s[0:1]
	v_mov_b64_e32 v[50:51], v[52:53]
	s_and_saveexec_b64 s[0:1], s[50:51]
	s_cbranch_execz .LBB0_39
; %bb.38:
	v_add_u32_e32 v7, 0x8f, v1
	v_mul_lo_u32 v7, s20, v7
	v_add3_u32 v8, s2, v6, v7
	v_mov_b32_e32 v9, 0
	v_lshl_add_u64 v[8:9], v[8:9], 4, s[12:13]
	global_load_dwordx4 v[50:53], v[8:9], off
.LBB0_39:
	s_or_b64 exec, exec, s[0:1]
	v_mov_b64_e32 v[56:57], 0
	v_mov_b64_e32 v[54:55], v[56:57]
	s_and_saveexec_b64 s[0:1], s[50:51]
	s_cbranch_execz .LBB0_41
; %bb.40:
	v_add_u32_e32 v7, 0x9c, v1
	v_mul_lo_u32 v7, s20, v7
	v_add3_u32 v6, s2, v6, v7
	v_mov_b32_e32 v7, 0
	v_lshl_add_u64 v[6:7], v[6:7], 4, s[12:13]
	global_load_dwordx4 v[54:57], v[6:7], off
.LBB0_41:
	s_or_b64 exec, exec, s[0:1]
	s_waitcnt vmcnt(0)
	v_add_f64 v[6:7], v[2:3], v[42:43]
	v_add_f64 v[8:9], v[4:5], v[44:45]
	;; [unrolled: 1-line block ×20, first 2 shown]
	s_mov_b32 s0, 0xe00740e9
	s_mov_b32 s2, 0x1ea71119
	;; [unrolled: 1-line block ×6, first 2 shown]
	v_add_f64 v[6:7], v[6:7], v[50:51]
	v_add_f64 v[8:9], v[8:9], v[52:53]
	v_add_f64 v[66:67], v[42:43], v[54:55]
	s_mov_b32 s1, 0x3fec55a7
	s_mov_b32 s34, 0x4267c47c
	;; [unrolled: 1-line block ×12, first 2 shown]
	v_add_f64 v[6:7], v[6:7], v[54:55]
	v_add_f64 v[8:9], v[8:9], v[56:57]
	v_add_f64 v[62:63], v[44:45], v[56:57]
	v_add_f64 v[64:65], v[42:43], -v[54:55]
	v_add_f64 v[56:57], v[44:45], -v[56:57]
	v_add_f64 v[54:55], v[34:35], v[50:51]
	v_add_f64 v[42:43], v[36:37], v[52:53]
	v_add_f64 v[44:45], v[34:35], -v[50:51]
	v_add_f64 v[34:35], v[36:37], -v[52:53]
	v_add_f64 v[50:51], v[26:27], v[46:47]
	v_add_f64 v[36:37], v[28:29], v[48:49]
	v_add_f64 v[46:47], v[26:27], -v[46:47]
	v_add_f64 v[26:27], v[28:29], -v[48:49]
	v_add_f64 v[48:49], v[22:23], v[38:39]
	v_add_f64 v[28:29], v[24:25], v[40:41]
	v_add_f64 v[38:39], v[22:23], -v[38:39]
	v_add_f64 v[22:23], v[24:25], -v[40:41]
	v_add_f64 v[52:53], v[18:19], v[30:31]
	v_add_f64 v[40:41], v[18:19], -v[30:31]
	v_add_f64 v[72:73], v[14:15], v[10:11]
	v_add_f64 v[70:71], v[14:15], -v[10:11]
	s_mov_b32 s35, 0x3fddbe06
	s_mov_b32 s13, 0xbfddbe06
	s_mov_b32 s12, s34
	v_mul_f64 v[10:11], v[66:67], s[0:1]
	s_mov_b32 s43, 0x3fea55e2
	s_mov_b32 s21, 0xbfea55e2
	s_mov_b32 s20, s42
	v_mul_f64 v[14:15], v[66:67], s[2:3]
	;; [unrolled: 4-line block ×5, first 2 shown]
	v_mul_f64 v[82:83], v[66:67], s[10:11]
	s_mov_b32 s45, 0x3fcea1e5
	s_mov_b32 s31, 0xbfcea1e5
	;; [unrolled: 1-line block ×3, first 2 shown]
	v_add_f64 v[24:25], v[20:21], v[32:33]
	v_add_f64 v[30:31], v[20:21], -v[32:33]
	v_add_f64 v[32:33], v[16:17], v[12:13]
	v_add_f64 v[68:69], v[16:17], -v[12:13]
	v_fma_f64 v[12:13], s[34:35], v[56:57], v[10:11]
	v_fmac_f64_e32 v[10:11], s[12:13], v[56:57]
	v_fma_f64 v[16:17], s[42:43], v[56:57], v[14:15]
	v_fmac_f64_e32 v[14:15], s[20:21], v[56:57]
	;; [unrolled: 2-line block ×6, first 2 shown]
	v_mul_f64 v[56:57], v[64:65], s[12:13]
	v_mul_f64 v[86:87], v[64:65], s[20:21]
	;; [unrolled: 1-line block ×6, first 2 shown]
	v_fma_f64 v[84:85], s[0:1], v[62:63], v[56:57]
	v_fma_f64 v[56:57], v[62:63], s[0:1], -v[56:57]
	v_fma_f64 v[88:89], s[2:3], v[62:63], v[86:87]
	v_fma_f64 v[86:87], v[62:63], s[2:3], -v[86:87]
	;; [unrolled: 2-line block ×6, first 2 shown]
	v_add_f64 v[12:13], v[2:3], v[12:13]
	v_add_f64 v[106:107], v[2:3], v[10:11]
	;; [unrolled: 1-line block ×12, first 2 shown]
	v_mul_f64 v[2:3], v[54:55], s[2:3]
	v_add_f64 v[84:85], v[4:5], v[84:85]
	v_add_f64 v[108:109], v[4:5], v[56:57]
	;; [unrolled: 1-line block ×12, first 2 shown]
	v_fma_f64 v[4:5], s[42:43], v[34:35], v[2:3]
	v_mul_f64 v[18:19], v[44:45], s[20:21]
	v_mul_f64 v[20:21], v[50:51], s[4:5]
	v_add_f64 v[4:5], v[4:5], v[12:13]
	v_fma_f64 v[10:11], s[2:3], v[42:43], v[18:19]
	v_fma_f64 v[12:13], s[36:37], v[26:27], v[20:21]
	v_mul_f64 v[78:79], v[46:47], s[22:23]
	v_add_f64 v[10:11], v[10:11], v[84:85]
	v_add_f64 v[4:5], v[12:13], v[4:5]
	v_fma_f64 v[12:13], s[4:5], v[36:37], v[78:79]
	v_mul_f64 v[80:81], v[48:49], s[6:7]
	v_add_f64 v[10:11], v[12:13], v[10:11]
	v_fma_f64 v[12:13], s[40:41], v[22:23], v[80:81]
	v_mul_f64 v[82:83], v[38:39], s[26:27]
	;; [unrolled: 3-line block ×3, first 2 shown]
	v_fmac_f64_e32 v[2:3], s[20:21], v[34:35]
	v_add_f64 v[10:11], v[12:13], v[10:11]
	v_fma_f64 v[12:13], s[38:39], v[30:31], v[84:85]
	v_mul_f64 v[98:99], v[40:41], s[28:29]
	v_add_f64 v[2:3], v[2:3], v[106:107]
	v_fma_f64 v[18:19], v[42:43], s[2:3], -v[18:19]
	v_fmac_f64_e32 v[20:21], s[22:23], v[26:27]
	v_add_f64 v[4:5], v[12:13], v[4:5]
	v_fma_f64 v[12:13], s[8:9], v[24:25], v[98:99]
	v_mul_f64 v[102:103], v[72:73], s[10:11]
	v_add_f64 v[18:19], v[18:19], v[108:109]
	v_add_f64 v[2:3], v[20:21], v[2:3]
	v_fma_f64 v[20:21], v[36:37], s[4:5], -v[78:79]
	v_add_f64 v[12:13], v[12:13], v[10:11]
	v_fma_f64 v[10:11], s[44:45], v[68:69], v[102:103]
	v_add_f64 v[18:19], v[20:21], v[18:19]
	v_fma_f64 v[20:21], v[28:29], s[6:7], -v[82:83]
	v_add_f64 v[10:11], v[10:11], v[4:5]
	v_mul_f64 v[4:5], v[70:71], s[30:31]
	v_add_f64 v[18:19], v[20:21], v[18:19]
	v_fma_f64 v[20:21], v[24:25], s[8:9], -v[98:99]
	v_fma_f64 v[104:105], s[10:11], v[32:33], v[4:5]
	v_fmac_f64_e32 v[80:81], s[26:27], v[22:23]
	v_add_f64 v[18:19], v[20:21], v[18:19]
	v_fma_f64 v[4:5], v[32:33], s[10:11], -v[4:5]
	v_mul_f64 v[78:79], v[54:55], s[6:7]
	v_add_f64 v[2:3], v[80:81], v[2:3]
	v_fmac_f64_e32 v[84:85], s[28:29], v[30:31]
	v_add_f64 v[4:5], v[4:5], v[18:19]
	v_fma_f64 v[18:19], s[40:41], v[34:35], v[78:79]
	v_mul_f64 v[80:81], v[44:45], s[26:27]
	v_mul_f64 v[82:83], v[50:51], s[10:11]
	v_add_f64 v[2:3], v[84:85], v[2:3]
	v_add_f64 v[16:17], v[18:19], v[16:17]
	v_fma_f64 v[18:19], s[6:7], v[42:43], v[80:81]
	v_fma_f64 v[20:21], s[44:45], v[26:27], v[82:83]
	v_mul_f64 v[84:85], v[46:47], s[30:31]
	v_add_f64 v[18:19], v[18:19], v[88:89]
	v_add_f64 v[16:17], v[20:21], v[16:17]
	v_fma_f64 v[20:21], s[10:11], v[36:37], v[84:85]
	v_mul_f64 v[88:89], v[48:49], s[8:9]
	v_fmac_f64_e32 v[102:103], s[30:31], v[68:69]
	v_add_f64 v[18:19], v[20:21], v[18:19]
	v_fma_f64 v[20:21], s[28:29], v[22:23], v[88:89]
	v_mul_f64 v[98:99], v[38:39], s[38:39]
	v_add_f64 v[2:3], v[102:103], v[2:3]
	v_add_f64 v[16:17], v[20:21], v[16:17]
	v_fma_f64 v[20:21], s[8:9], v[28:29], v[98:99]
	v_mul_f64 v[102:103], v[52:53], s[4:5]
	v_fmac_f64_e32 v[78:79], s[26:27], v[34:35]
	v_add_f64 v[12:13], v[104:105], v[12:13]
	v_add_f64 v[18:19], v[20:21], v[18:19]
	v_fma_f64 v[20:21], s[22:23], v[30:31], v[102:103]
	v_mul_f64 v[104:105], v[40:41], s[36:37]
	v_add_f64 v[14:15], v[78:79], v[14:15]
	v_fma_f64 v[78:79], v[42:43], s[6:7], -v[80:81]
	v_add_f64 v[16:17], v[20:21], v[16:17]
	v_fma_f64 v[20:21], s[4:5], v[24:25], v[104:105]
	v_mul_f64 v[106:107], v[72:73], s[0:1]
	v_add_f64 v[78:79], v[78:79], v[86:87]
	v_fma_f64 v[80:81], v[36:37], s[10:11], -v[84:85]
	v_add_f64 v[20:21], v[20:21], v[18:19]
	v_fma_f64 v[18:19], s[12:13], v[68:69], v[106:107]
	v_add_f64 v[78:79], v[80:81], v[78:79]
	v_fma_f64 v[80:81], v[28:29], s[8:9], -v[98:99]
	v_add_f64 v[18:19], v[18:19], v[16:17]
	v_mul_f64 v[16:17], v[70:71], s[34:35]
	v_fmac_f64_e32 v[82:83], s[30:31], v[26:27]
	v_add_f64 v[78:79], v[80:81], v[78:79]
	v_fma_f64 v[80:81], v[24:25], s[4:5], -v[104:105]
	v_fma_f64 v[108:109], s[0:1], v[32:33], v[16:17]
	v_add_f64 v[14:15], v[82:83], v[14:15]
	v_add_f64 v[78:79], v[80:81], v[78:79]
	v_fma_f64 v[16:17], v[32:33], s[0:1], -v[16:17]
	v_mul_f64 v[82:83], v[54:55], s[10:11]
	v_fmac_f64_e32 v[88:89], s[38:39], v[22:23]
	v_add_f64 v[16:17], v[16:17], v[78:79]
	v_fma_f64 v[78:79], s[44:45], v[34:35], v[82:83]
	v_mul_f64 v[86:87], v[50:51], s[6:7]
	v_add_f64 v[14:15], v[88:89], v[14:15]
	v_add_f64 v[78:79], v[78:79], v[110:111]
	v_mul_f64 v[84:85], v[44:45], s[30:31]
	v_fma_f64 v[88:89], s[26:27], v[26:27], v[86:87]
	v_fma_f64 v[80:81], s[10:11], v[42:43], v[84:85]
	v_add_f64 v[78:79], v[88:89], v[78:79]
	v_mul_f64 v[88:89], v[46:47], s[40:41]
	v_add_f64 v[80:81], v[80:81], v[92:93]
	v_fma_f64 v[92:93], s[6:7], v[36:37], v[88:89]
	v_add_f64 v[80:81], v[92:93], v[80:81]
	v_mul_f64 v[92:93], v[48:49], s[0:1]
	v_fma_f64 v[98:99], s[12:13], v[22:23], v[92:93]
	v_fmac_f64_e32 v[102:103], s[36:37], v[30:31]
	v_add_f64 v[78:79], v[98:99], v[78:79]
	v_mul_f64 v[98:99], v[38:39], s[34:35]
	v_add_f64 v[14:15], v[102:103], v[14:15]
	v_fma_f64 v[102:103], s[0:1], v[28:29], v[98:99]
	v_add_f64 v[80:81], v[102:103], v[80:81]
	v_mul_f64 v[102:103], v[52:53], s[2:3]
	v_fma_f64 v[104:105], s[42:43], v[30:31], v[102:103]
	v_fmac_f64_e32 v[106:107], s[34:35], v[68:69]
	v_add_f64 v[78:79], v[104:105], v[78:79]
	v_mul_f64 v[104:105], v[40:41], s[20:21]
	v_fmac_f64_e32 v[82:83], s[30:31], v[34:35]
	v_add_f64 v[14:15], v[106:107], v[14:15]
	v_fma_f64 v[106:107], s[2:3], v[24:25], v[104:105]
	v_add_f64 v[82:83], v[82:83], v[112:113]
	v_fma_f64 v[84:85], v[42:43], s[10:11], -v[84:85]
	v_fmac_f64_e32 v[86:87], s[40:41], v[26:27]
	v_add_f64 v[80:81], v[106:107], v[80:81]
	v_mul_f64 v[106:107], v[72:73], s[8:9]
	v_add_f64 v[84:85], v[84:85], v[90:91]
	v_add_f64 v[82:83], v[86:87], v[82:83]
	v_fma_f64 v[86:87], v[36:37], s[6:7], -v[88:89]
	v_add_f64 v[20:21], v[108:109], v[20:21]
	v_fma_f64 v[108:109], s[38:39], v[68:69], v[106:107]
	v_add_f64 v[84:85], v[86:87], v[84:85]
	v_fmac_f64_e32 v[92:93], s[34:35], v[22:23]
	v_fma_f64 v[86:87], v[28:29], s[0:1], -v[98:99]
	v_add_f64 v[78:79], v[108:109], v[78:79]
	v_mul_f64 v[108:109], v[70:71], s[28:29]
	v_add_f64 v[82:83], v[92:93], v[82:83]
	v_add_f64 v[84:85], v[86:87], v[84:85]
	v_fma_f64 v[86:87], v[24:25], s[2:3], -v[104:105]
	v_mul_f64 v[92:93], v[44:45], s[38:39]
	v_add_f64 v[84:85], v[86:87], v[84:85]
	v_fma_f64 v[86:87], v[32:33], s[8:9], -v[108:109]
	v_mul_f64 v[90:91], v[54:55], s[8:9]
	v_fma_f64 v[88:89], s[8:9], v[42:43], v[92:93]
	v_add_f64 v[84:85], v[86:87], v[84:85]
	v_fma_f64 v[86:87], s[28:29], v[34:35], v[90:91]
	v_add_f64 v[88:89], v[88:89], v[96:97]
	v_mul_f64 v[96:97], v[50:51], s[0:1]
	v_add_f64 v[86:87], v[86:87], v[114:115]
	v_fma_f64 v[98:99], s[12:13], v[26:27], v[96:97]
	v_fmac_f64_e32 v[102:103], s[20:21], v[30:31]
	v_add_f64 v[86:87], v[98:99], v[86:87]
	v_mul_f64 v[98:99], v[46:47], s[34:35]
	v_add_f64 v[82:83], v[102:103], v[82:83]
	v_fma_f64 v[102:103], s[0:1], v[36:37], v[98:99]
	v_add_f64 v[88:89], v[102:103], v[88:89]
	v_mul_f64 v[102:103], v[48:49], s[4:5]
	v_fma_f64 v[104:105], s[36:37], v[22:23], v[102:103]
	v_fmac_f64_e32 v[106:107], s[28:29], v[68:69]
	v_add_f64 v[86:87], v[104:105], v[86:87]
	v_mul_f64 v[104:105], v[38:39], s[22:23]
	v_add_f64 v[82:83], v[106:107], v[82:83]
	v_fma_f64 v[106:107], s[4:5], v[28:29], v[104:105]
	v_add_f64 v[88:89], v[106:107], v[88:89]
	v_mul_f64 v[106:107], v[52:53], s[10:11]
	v_fma_f64 v[110:111], s[8:9], v[32:33], v[108:109]
	v_fma_f64 v[108:109], s[30:31], v[30:31], v[106:107]
	v_add_f64 v[86:87], v[108:109], v[86:87]
	v_mul_f64 v[108:109], v[40:41], s[44:45]
	v_add_f64 v[80:81], v[110:111], v[80:81]
	v_fma_f64 v[110:111], s[10:11], v[24:25], v[108:109]
	v_fmac_f64_e32 v[90:91], s[38:39], v[34:35]
	v_fma_f64 v[92:93], v[42:43], s[8:9], -v[92:93]
	v_add_f64 v[88:89], v[110:111], v[88:89]
	v_mul_f64 v[110:111], v[72:73], s[2:3]
	v_add_f64 v[90:91], v[90:91], v[116:117]
	v_add_f64 v[92:93], v[92:93], v[94:95]
	v_fmac_f64_e32 v[96:97], s[34:35], v[26:27]
	v_fma_f64 v[94:95], v[36:37], s[0:1], -v[98:99]
	v_fma_f64 v[112:113], s[20:21], v[68:69], v[110:111]
	v_add_f64 v[90:91], v[96:97], v[90:91]
	v_add_f64 v[92:93], v[94:95], v[92:93]
	v_fmac_f64_e32 v[102:103], s[22:23], v[22:23]
	v_fma_f64 v[94:95], v[28:29], s[4:5], -v[104:105]
	v_add_f64 v[86:87], v[112:113], v[86:87]
	v_mul_f64 v[112:113], v[70:71], s[42:43]
	v_add_f64 v[90:91], v[102:103], v[90:91]
	v_add_f64 v[92:93], v[94:95], v[92:93]
	v_fma_f64 v[94:95], v[24:25], s[10:11], -v[108:109]
	v_mul_f64 v[102:103], v[44:45], s[36:37]
	v_add_f64 v[92:93], v[94:95], v[92:93]
	v_fma_f64 v[94:95], v[32:33], s[2:3], -v[112:113]
	v_mul_f64 v[98:99], v[54:55], s[4:5]
	v_fma_f64 v[96:97], s[4:5], v[42:43], v[102:103]
	v_add_f64 v[92:93], v[94:95], v[92:93]
	v_fma_f64 v[94:95], s[22:23], v[34:35], v[98:99]
	v_add_f64 v[96:97], v[96:97], v[100:101]
	v_mul_f64 v[100:101], v[50:51], s[2:3]
	v_add_f64 v[94:95], v[94:95], v[118:119]
	v_fma_f64 v[104:105], s[42:43], v[26:27], v[100:101]
	v_fmac_f64_e32 v[106:107], s[44:45], v[30:31]
	v_add_f64 v[94:95], v[104:105], v[94:95]
	v_mul_f64 v[104:105], v[46:47], s[20:21]
	v_add_f64 v[90:91], v[106:107], v[90:91]
	v_fma_f64 v[106:107], s[2:3], v[36:37], v[104:105]
	v_add_f64 v[96:97], v[106:107], v[96:97]
	v_mul_f64 v[106:107], v[48:49], s[10:11]
	v_fma_f64 v[108:109], s[30:31], v[22:23], v[106:107]
	v_fmac_f64_e32 v[110:111], s[42:43], v[68:69]
	v_add_f64 v[94:95], v[108:109], v[94:95]
	v_mul_f64 v[108:109], v[38:39], s[44:45]
	v_add_f64 v[90:91], v[110:111], v[90:91]
	v_fma_f64 v[110:111], s[10:11], v[28:29], v[108:109]
	v_add_f64 v[96:97], v[110:111], v[96:97]
	v_mul_f64 v[110:111], v[52:53], s[0:1]
	v_fma_f64 v[114:115], s[2:3], v[32:33], v[112:113]
	v_fma_f64 v[112:113], s[12:13], v[30:31], v[110:111]
	v_add_f64 v[94:95], v[112:113], v[94:95]
	v_mul_f64 v[112:113], v[40:41], s[34:35]
	v_fmac_f64_e32 v[98:99], s[36:37], v[34:35]
	v_add_f64 v[88:89], v[114:115], v[88:89]
	v_fma_f64 v[114:115], s[0:1], v[24:25], v[112:113]
	v_add_f64 v[76:77], v[98:99], v[76:77]
	v_fma_f64 v[98:99], v[42:43], s[4:5], -v[102:103]
	v_fmac_f64_e32 v[100:101], s[20:21], v[26:27]
	v_add_f64 v[96:97], v[114:115], v[96:97]
	v_mul_f64 v[114:115], v[72:73], s[6:7]
	v_add_f64 v[74:75], v[98:99], v[74:75]
	v_add_f64 v[76:77], v[100:101], v[76:77]
	v_fma_f64 v[98:99], v[36:37], s[2:3], -v[104:105]
	v_fmac_f64_e32 v[106:107], s[44:45], v[22:23]
	v_fma_f64 v[116:117], s[40:41], v[68:69], v[114:115]
	v_add_f64 v[74:75], v[98:99], v[74:75]
	v_add_f64 v[76:77], v[106:107], v[76:77]
	v_fma_f64 v[98:99], v[28:29], s[10:11], -v[108:109]
	v_fmac_f64_e32 v[110:111], s[34:35], v[30:31]
	v_add_f64 v[94:95], v[116:117], v[94:95]
	v_mul_f64 v[116:117], v[70:71], s[26:27]
	v_add_f64 v[74:75], v[98:99], v[74:75]
	v_add_f64 v[76:77], v[110:111], v[76:77]
	v_fma_f64 v[98:99], v[24:25], s[0:1], -v[112:113]
	v_fmac_f64_e32 v[114:115], s[26:27], v[68:69]
	v_add_f64 v[98:99], v[98:99], v[74:75]
	v_add_f64 v[74:75], v[114:115], v[76:77]
	v_fma_f64 v[76:77], v[32:33], s[6:7], -v[116:117]
	v_mul_f64 v[54:55], v[54:55], s[0:1]
	v_add_f64 v[76:77], v[76:77], v[98:99]
	v_fma_f64 v[98:99], s[12:13], v[34:35], v[54:55]
	v_mul_f64 v[44:45], v[44:45], s[34:35]
	v_add_f64 v[66:67], v[98:99], v[66:67]
	v_fma_f64 v[98:99], s[0:1], v[42:43], v[44:45]
	;; [unrolled: 3-line block ×5, first 2 shown]
	v_add_f64 v[66:67], v[98:99], v[66:67]
	v_mul_f64 v[98:99], v[38:39], s[42:43]
	v_fma_f64 v[38:39], s[2:3], v[28:29], v[98:99]
	v_mul_f64 v[52:53], v[52:53], s[6:7]
	v_fmac_f64_e32 v[54:55], s[34:35], v[34:35]
	v_add_f64 v[38:39], v[38:39], v[64:65]
	v_fma_f64 v[64:65], s[40:41], v[30:31], v[52:53]
	v_add_f64 v[34:35], v[54:55], v[62:63]
	v_fma_f64 v[42:43], v[42:43], s[0:1], -v[44:45]
	v_fmac_f64_e32 v[50:51], s[28:29], v[26:27]
	v_add_f64 v[64:65], v[64:65], v[66:67]
	v_mul_f64 v[66:67], v[40:41], s[26:27]
	v_add_f64 v[42:43], v[42:43], v[56:57]
	v_add_f64 v[26:27], v[50:51], v[34:35]
	v_fma_f64 v[34:35], v[36:37], s[8:9], -v[46:47]
	v_fmac_f64_e32 v[48:49], s[42:43], v[22:23]
	s_load_dwordx2 s[48:49], s[48:49], 0x0
	v_fma_f64 v[40:41], s[6:7], v[24:25], v[66:67]
	v_mul_f64 v[72:73], v[72:73], s[4:5]
	v_add_f64 v[34:35], v[34:35], v[42:43]
	v_add_f64 v[22:23], v[48:49], v[26:27]
	v_fma_f64 v[26:27], v[28:29], s[2:3], -v[98:99]
	v_fmac_f64_e32 v[52:53], s[26:27], v[30:31]
	v_add_f64 v[40:41], v[40:41], v[38:39]
	v_fma_f64 v[38:39], s[22:23], v[68:69], v[72:73]
	v_add_f64 v[26:27], v[26:27], v[34:35]
	v_add_f64 v[22:23], v[52:53], v[22:23]
	v_fma_f64 v[24:25], v[24:25], s[6:7], -v[66:67]
	v_fmac_f64_e32 v[72:73], s[36:37], v[68:69]
	s_movk_i32 s19, 0x9c0
	v_add_f64 v[38:39], v[38:39], v[64:65]
	v_mul_f64 v[64:65], v[70:71], s[36:37]
	v_add_f64 v[26:27], v[24:25], v[26:27]
	v_add_f64 v[24:25], v[72:73], v[22:23]
	v_mad_u32_u24 v22, v1, s19, 0
	v_fma_f64 v[118:119], s[6:7], v[32:33], v[116:117]
	v_fma_f64 v[70:71], s[4:5], v[32:33], v[64:65]
	v_fma_f64 v[28:29], v[32:33], s[4:5], -v[64:65]
	v_lshl_add_u32 v23, v60, 4, v22
	v_add_f64 v[96:97], v[118:119], v[96:97]
	v_add_f64 v[40:41], v[70:71], v[40:41]
	;; [unrolled: 1-line block ×3, first 2 shown]
	ds_write_b128 v23, v[6:9]
	ds_write_b128 v23, v[10:13] offset:192
	ds_write_b128 v23, v[18:21] offset:384
	ds_write_b128 v23, v[78:81] offset:576
	ds_write_b128 v23, v[86:89] offset:768
	ds_write_b128 v23, v[94:97] offset:960
	ds_write_b128 v23, v[38:41] offset:1152
	ds_write_b128 v23, v[24:27] offset:1344
	ds_write_b128 v23, v[74:77] offset:1536
	ds_write_b128 v23, v[90:93] offset:1728
	ds_write_b128 v23, v[82:85] offset:1920
	ds_write_b128 v23, v[14:17] offset:2112
	ds_write_b128 v23, v[2:5] offset:2304
	s_waitcnt lgkmcnt(0)
	s_barrier
	s_and_saveexec_b64 s[52:53], s[50:51]
	s_cbranch_execz .LBB0_43
; %bb.42:
	s_mov_b32 s19, 0x13b13b14
	v_mul_hi_u32 v2, v1, s19
	v_mul_u32_u24_e32 v2, 13, v2
	v_sub_u32_e32 v167, v1, v2
	v_mul_u32_u24_e32 v2, 12, v167
	v_lshlrev_b32_e32 v23, 4, v2
	global_load_dwordx4 v[6:9], v23, s[46:47] offset:80
	global_load_dwordx4 v[2:5], v23, s[46:47] offset:96
	;; [unrolled: 1-line block ×10, first 2 shown]
	global_load_dwordx4 v[44:47], v23, s[46:47]
	global_load_dwordx4 v[102:105], v23, s[46:47] offset:176
	v_mul_i32_i24_e32 v1, 0xfffff700, v1
	v_lshlrev_b32_e32 v23, 4, v60
	v_add3_u32 v1, v22, v1, v23
	ds_read_b128 v[48:51], v1 offset:14976
	ds_read_b128 v[52:55], v1 offset:17472
	;; [unrolled: 1-line block ×11, first 2 shown]
	s_add_i32 s19, 0, 0x7ec0
	v_mul_lo_u32 v61, v166, -13
	s_mov_b32 s25, 0x1a41a42
	s_waitcnt vmcnt(11) lgkmcnt(10)
	v_mul_f64 v[76:77], v[48:49], v[8:9]
	s_waitcnt vmcnt(10) lgkmcnt(9)
	v_mul_f64 v[78:79], v[52:53], v[4:5]
	v_mul_f64 v[8:9], v[50:51], v[8:9]
	;; [unrolled: 1-line block ×3, first 2 shown]
	s_waitcnt vmcnt(9) lgkmcnt(8)
	v_mul_f64 v[82:83], v[62:63], v[16:17]
	v_mul_f64 v[16:17], v[64:65], v[16:17]
	s_waitcnt vmcnt(6) lgkmcnt(5)
	v_mul_f64 v[84:85], v[98:99], v[26:27]
	v_mul_f64 v[22:23], v[100:101], v[26:27]
	v_fmac_f64_e32 v[76:77], v[50:51], v[6:7]
	v_fmac_f64_e32 v[78:79], v[54:55], v[2:3]
	v_fma_f64 v[6:7], v[48:49], v[6:7], -v[8:9]
	v_fma_f64 v[2:3], v[52:53], v[2:3], -v[4:5]
	;; [unrolled: 1-line block ×3, first 2 shown]
	v_fmac_f64_e32 v[84:85], v[100:101], v[24:25]
	v_fma_f64 v[62:63], v[98:99], v[24:25], -v[22:23]
	v_add_f64 v[128:129], v[6:7], -v[2:3]
	v_mov_b64_e32 v[24:25], v[6:7]
	ds_read_b128 v[6:9], v1 offset:29952
	v_mul_f64 v[80:81], v[66:67], v[12:13]
	v_mul_f64 v[12:13], v[68:69], v[12:13]
	s_waitcnt vmcnt(5) lgkmcnt(5)
	v_mul_f64 v[94:95], v[106:107], v[30:31]
	s_waitcnt vmcnt(4) lgkmcnt(4)
	v_mul_f64 v[88:89], v[110:111], v[34:35]
	v_mul_f64 v[26:27], v[108:109], v[30:31]
	;; [unrolled: 1-line block ×3, first 2 shown]
	s_waitcnt vmcnt(3) lgkmcnt(3)
	v_mul_f64 v[96:97], v[114:115], v[38:39]
	v_mul_f64 v[34:35], v[116:117], v[38:39]
	s_waitcnt vmcnt(2) lgkmcnt(2)
	v_mul_f64 v[38:39], v[120:121], v[42:43]
	v_fma_f64 v[4:5], v[66:67], v[10:11], -v[12:13]
	v_mul_f64 v[90:91], v[70:71], v[20:21]
	v_mul_f64 v[20:21], v[72:73], v[20:21]
	v_fmac_f64_e32 v[80:81], v[68:69], v[10:11]
	v_fma_f64 v[68:69], v[118:119], v[40:41], -v[38:39]
	v_mov_b64_e32 v[22:23], v[2:3]
	v_add_f64 v[132:133], v[56:57], -v[4:5]
	v_mov_b64_e32 v[38:39], v[4:5]
	ds_read_b128 v[2:5], v1
	s_waitcnt vmcnt(1) lgkmcnt(2)
	v_mul_f64 v[100:101], v[122:123], v[46:47]
	s_waitcnt vmcnt(0) lgkmcnt(1)
	v_mul_f64 v[98:99], v[6:7], v[104:105]
	v_mul_f64 v[92:93], v[118:119], v[42:43]
	v_fma_f64 v[66:67], v[70:71], v[18:19], -v[20:21]
	v_fmac_f64_e32 v[100:101], v[124:125], v[44:45]
	v_fmac_f64_e32 v[98:99], v[8:9], v[102:103]
	v_mul_f64 v[20:21], v[124:125], v[46:47]
	v_mul_f64 v[8:9], v[8:9], v[104:105]
	v_fmac_f64_e32 v[90:91], v[72:73], v[18:19]
	v_fmac_f64_e32 v[96:97], v[116:117], v[36:37]
	;; [unrolled: 1-line block ×3, first 2 shown]
	v_fma_f64 v[72:73], v[114:115], v[36:37], -v[34:35]
	v_add_f64 v[36:37], v[100:101], v[98:99]
	v_fma_f64 v[86:87], v[122:123], v[44:45], -v[20:21]
	v_fma_f64 v[74:75], v[6:7], v[102:103], -v[8:9]
	v_fmac_f64_e32 v[94:95], v[108:109], v[28:29]
	v_fmac_f64_e32 v[88:89], v[112:113], v[32:33]
	v_add_f64 v[34:35], v[96:97], v[92:93]
	v_mul_f64 v[146:147], v[36:37], s[0:1]
	v_add_f64 v[148:149], v[86:87], -v[74:75]
	v_fmac_f64_e32 v[82:83], v[64:65], v[14:15]
	v_fma_f64 v[70:71], v[106:107], v[28:29], -v[26:27]
	v_fma_f64 v[64:65], v[110:111], v[32:33], -v[30:31]
	v_add_f64 v[32:33], v[94:95], v[88:89]
	v_add_f64 v[140:141], v[72:73], -v[68:69]
	v_mul_f64 v[144:145], v[34:35], s[2:3]
	v_fma_f64 v[6:7], s[34:35], v[148:149], v[146:147]
	v_add_f64 v[30:31], v[90:91], v[84:85]
	v_add_f64 v[138:139], v[70:71], -v[64:65]
	v_mul_f64 v[142:143], v[32:33], s[4:5]
	v_fma_f64 v[18:19], s[42:43], v[140:141], v[144:145]
	s_waitcnt lgkmcnt(0)
	v_add_f64 v[6:7], v[4:5], v[6:7]
	v_add_f64 v[28:29], v[82:83], v[80:81]
	v_add_f64 v[134:135], v[66:67], -v[62:63]
	v_mul_f64 v[136:137], v[30:31], s[6:7]
	v_fma_f64 v[16:17], s[36:37], v[138:139], v[142:143]
	v_add_f64 v[6:7], v[18:19], v[6:7]
	v_mul_f64 v[130:131], v[28:29], s[8:9]
	v_fma_f64 v[14:15], s[40:41], v[134:135], v[136:137]
	v_add_f64 v[6:7], v[16:17], v[6:7]
	v_add_u32_e32 v1, 0x9c, v167
	v_fma_f64 v[12:13], s[38:39], v[132:133], v[130:131]
	v_add_f64 v[6:7], v[14:15], v[6:7]
	v_mul_lo_u32 v1, v1, v166
	v_add_f64 v[26:27], v[76:77], v[78:79]
	v_add_f64 v[6:7], v[12:13], v[6:7]
	v_lshrrev_b32_e32 v12, 2, v1
	v_mul_f64 v[126:127], v[26:27], s[10:11]
	v_and_b32_e32 v8, 63, v1
	v_and_b32_e32 v12, 0x3f0, v12
	v_fma_f64 v[10:11], s[44:45], v[128:129], v[126:127]
	v_lshl_add_u32 v8, v8, 4, 0
	v_add_u32_e32 v12, s19, v12
	v_add_f64 v[6:7], v[10:11], v[6:7]
	ds_read_b128 v[8:11], v8 offset:32448
	ds_read_b128 v[12:15], v12 offset:1024
	v_lshrrev_b32_e32 v16, 8, v1
	v_and_b32_e32 v16, 0x3f0, v16
	v_add_f64 v[208:209], v[100:101], -v[98:99]
	v_add_u32_e32 v16, s19, v16
	v_add_f64 v[206:207], v[96:97], -v[92:93]
	v_add_f64 v[118:119], v[86:87], v[74:75]
	v_mul_f64 v[122:123], v[208:209], s[12:13]
	ds_read_b128 v[16:19], v16 offset:2048
	v_accvgpr_write_b32 a4, v38
	v_add_f64 v[204:205], v[94:95], -v[88:89]
	v_add_f64 v[110:111], v[72:73], v[68:69]
	v_mul_f64 v[114:115], v[206:207], s[20:21]
	v_fma_f64 v[40:41], s[0:1], v[118:119], v[122:123]
	s_waitcnt lgkmcnt(1)
	v_mul_f64 v[20:21], v[10:11], v[14:15]
	v_accvgpr_write_b32 a2, v24
	v_add_f64 v[198:199], v[76:77], -v[78:79]
	v_add_f64 v[106:107], v[56:57], v[38:39]
	v_accvgpr_write_b32 a5, v39
	v_add_f64 v[202:203], v[90:91], -v[84:85]
	v_add_f64 v[120:121], v[70:71], v[64:65]
	v_mul_f64 v[124:125], v[204:205], s[22:23]
	v_fma_f64 v[38:39], s[2:3], v[110:111], v[114:115]
	v_add_f64 v[40:41], v[2:3], v[40:41]
	v_fma_f64 v[20:21], v[8:9], v[12:13], -v[20:21]
	v_mul_f64 v[8:9], v[8:9], v[14:15]
	v_add_f64 v[102:103], v[24:25], v[22:23]
	v_accvgpr_write_b32 a3, v25
	v_accvgpr_write_b32 a0, v22
	v_mul_f64 v[14:15], v[198:199], s[30:31]
	v_add_f64 v[200:201], v[82:83], -v[80:81]
	v_add_f64 v[112:113], v[66:67], v[62:63]
	v_mul_f64 v[116:117], v[202:203], s[26:27]
	v_fma_f64 v[24:25], s[4:5], v[120:121], v[124:125]
	v_add_f64 v[38:39], v[38:39], v[40:41]
	v_accvgpr_write_b32 a1, v23
	v_accvgpr_write_b32 a6, v14
	v_mul_f64 v[108:109], v[200:201], s[28:29]
	v_fma_f64 v[22:23], s[6:7], v[112:113], v[116:117]
	v_add_f64 v[24:25], v[24:25], v[38:39]
	v_fmac_f64_e32 v[8:9], v[10:11], v[12:13]
	v_fma_f64 v[12:13], s[10:11], v[102:103], v[14:15]
	v_accvgpr_write_b32 a7, v15
	v_fma_f64 v[14:15], s[8:9], v[106:107], v[108:109]
	v_add_f64 v[22:23], v[22:23], v[24:25]
	s_waitcnt lgkmcnt(0)
	v_mul_f64 v[10:11], v[8:9], v[18:19]
	v_add_f64 v[14:15], v[14:15], v[22:23]
	v_mul_f64 v[156:157], v[36:37], s[2:3]
	v_fma_f64 v[10:11], v[16:17], v[20:21], -v[10:11]
	v_add_f64 v[12:13], v[12:13], v[14:15]
	v_mul_f64 v[14:15], v[20:21], v[18:19]
	v_mul_f64 v[154:155], v[34:35], s[6:7]
	v_fma_f64 v[20:21], s[42:43], v[148:149], v[156:157]
	v_fmac_f64_e32 v[14:15], v[16:17], v[8:9]
	v_mul_f64 v[152:153], v[32:33], s[10:11]
	v_fma_f64 v[18:19], s[40:41], v[140:141], v[154:155]
	v_add_f64 v[20:21], v[4:5], v[20:21]
	v_mul_f64 v[8:9], v[12:13], v[14:15]
	v_mul_f64 v[150:151], v[30:31], s[8:9]
	v_fma_f64 v[16:17], s[44:45], v[138:139], v[152:153]
	v_add_f64 v[18:19], v[18:19], v[20:21]
	v_fmac_f64_e32 v[8:9], v[6:7], v[10:11]
	v_mul_f64 v[6:7], v[6:7], v[14:15]
	v_mul_f64 v[48:49], v[28:29], s[4:5]
	v_fma_f64 v[14:15], s[28:29], v[134:135], v[150:151]
	v_add_f64 v[16:17], v[16:17], v[18:19]
	v_fma_f64 v[6:7], v[12:13], v[10:11], -v[6:7]
	v_mul_f64 v[46:47], v[26:27], s[0:1]
	v_fma_f64 v[12:13], s[22:23], v[132:133], v[48:49]
	v_add_f64 v[14:15], v[14:15], v[16:17]
	v_add_u32_e32 v1, v1, v61
	v_fma_f64 v[10:11], s[12:13], v[128:129], v[46:47]
	v_add_f64 v[12:13], v[12:13], v[14:15]
	v_lshrrev_b32_e32 v16, 2, v1
	v_add_f64 v[10:11], v[10:11], v[12:13]
	v_and_b32_e32 v12, 63, v1
	v_and_b32_e32 v16, 0x3f0, v16
	v_lshl_add_u32 v12, v12, 4, 0
	v_add_u32_e32 v16, s19, v16
	ds_read_b128 v[12:15], v12 offset:32448
	ds_read_b128 v[16:19], v16 offset:1024
	v_lshrrev_b32_e32 v20, 8, v1
	v_and_b32_e32 v20, 0x3f0, v20
	v_add_u32_e32 v20, s19, v20
	v_mul_f64 v[168:169], v[208:209], s[20:21]
	ds_read_b128 v[20:23], v20 offset:2048
	v_mul_f64 v[50:51], v[206:207], s[26:27]
	v_fma_f64 v[44:45], s[2:3], v[118:119], v[168:169]
	v_mul_f64 v[52:53], v[204:205], s[30:31]
	v_fma_f64 v[42:43], s[6:7], v[110:111], v[50:51]
	v_add_f64 v[44:45], v[2:3], v[44:45]
	s_waitcnt lgkmcnt(1)
	v_mul_f64 v[24:25], v[14:15], v[18:19]
	v_mul_f64 v[54:55], v[202:203], s[38:39]
	v_fma_f64 v[40:41], s[10:11], v[120:121], v[52:53]
	v_add_f64 v[42:43], v[42:43], v[44:45]
	v_fma_f64 v[24:25], v[12:13], v[16:17], -v[24:25]
	v_mul_f64 v[12:13], v[12:13], v[18:19]
	v_mul_f64 v[160:161], v[200:201], s[36:37]
	v_fma_f64 v[38:39], s[8:9], v[112:113], v[54:55]
	v_add_f64 v[40:41], v[40:41], v[42:43]
	v_fmac_f64_e32 v[12:13], v[14:15], v[16:17]
	v_mul_f64 v[158:159], v[198:199], s[34:35]
	v_fma_f64 v[18:19], s[4:5], v[106:107], v[160:161]
	v_add_f64 v[38:39], v[38:39], v[40:41]
	s_waitcnt lgkmcnt(0)
	v_mul_f64 v[14:15], v[12:13], v[22:23]
	v_fma_f64 v[16:17], s[0:1], v[102:103], v[158:159]
	v_add_f64 v[18:19], v[18:19], v[38:39]
	v_mul_f64 v[188:189], v[36:37], s[4:5]
	v_fma_f64 v[14:15], v[20:21], v[24:25], -v[14:15]
	v_add_f64 v[16:17], v[16:17], v[18:19]
	v_mul_f64 v[18:19], v[24:25], v[22:23]
	v_mul_f64 v[186:187], v[34:35], s[10:11]
	v_fma_f64 v[24:25], s[36:37], v[148:149], v[188:189]
	v_fmac_f64_e32 v[18:19], v[20:21], v[12:13]
	v_mul_f64 v[184:185], v[32:33], s[6:7]
	v_fma_f64 v[22:23], s[44:45], v[140:141], v[186:187]
	v_add_f64 v[24:25], v[4:5], v[24:25]
	v_mul_f64 v[12:13], v[16:17], v[18:19]
	v_mul_f64 v[182:183], v[30:31], s[0:1]
	v_fma_f64 v[20:21], s[26:27], v[138:139], v[184:185]
	v_add_f64 v[22:23], v[22:23], v[24:25]
	v_fmac_f64_e32 v[12:13], v[10:11], v[14:15]
	v_mul_f64 v[10:11], v[10:11], v[18:19]
	v_mul_f64 v[180:181], v[28:29], s[2:3]
	v_fma_f64 v[18:19], s[12:13], v[134:135], v[182:183]
	v_add_f64 v[20:21], v[20:21], v[22:23]
	v_fma_f64 v[10:11], v[16:17], v[14:15], -v[10:11]
	v_mul_f64 v[178:179], v[26:27], s[8:9]
	v_fma_f64 v[16:17], s[42:43], v[132:133], v[180:181]
	v_add_f64 v[18:19], v[18:19], v[20:21]
	v_add_u32_e32 v1, v1, v61
	v_fma_f64 v[14:15], s[38:39], v[128:129], v[178:179]
	v_add_f64 v[16:17], v[16:17], v[18:19]
	v_lshrrev_b32_e32 v18, 2, v1
	v_add_f64 v[38:39], v[14:15], v[16:17]
	v_and_b32_e32 v14, 63, v1
	v_and_b32_e32 v18, 0x3f0, v18
	v_lshl_add_u32 v14, v14, 4, 0
	v_add_u32_e32 v18, s19, v18
	ds_read_b128 v[14:17], v14 offset:32448
	ds_read_b128 v[18:21], v18 offset:1024
	v_lshrrev_b32_e32 v22, 8, v1
	v_and_b32_e32 v22, 0x3f0, v22
	v_add_u32_e32 v22, s19, v22
	ds_read_b128 v[22:25], v22 offset:2048
	v_mul_f64 v[176:177], v[208:209], s[22:23]
	v_mul_f64 v[174:175], v[206:207], s[30:31]
	v_fma_f64 v[196:197], s[4:5], v[118:119], v[176:177]
	s_waitcnt lgkmcnt(1)
	v_mul_f64 v[40:41], v[16:17], v[20:21]
	v_mul_f64 v[172:173], v[204:205], s[40:41]
	v_fma_f64 v[194:195], s[10:11], v[110:111], v[174:175]
	v_add_f64 v[196:197], v[2:3], v[196:197]
	v_fma_f64 v[40:41], v[14:15], v[18:19], -v[40:41]
	v_mul_f64 v[14:15], v[14:15], v[20:21]
	v_mul_f64 v[170:171], v[202:203], s[34:35]
	v_fma_f64 v[192:193], s[6:7], v[120:121], v[172:173]
	v_add_f64 v[194:195], v[194:195], v[196:197]
	v_fmac_f64_e32 v[14:15], v[16:17], v[18:19]
	v_mul_f64 v[44:45], v[200:201], s[20:21]
	v_fma_f64 v[190:191], s[0:1], v[112:113], v[170:171]
	v_add_f64 v[192:193], v[192:193], v[194:195]
	s_waitcnt lgkmcnt(0)
	v_mul_f64 v[16:17], v[14:15], v[24:25]
	v_mul_f64 v[42:43], v[198:199], s[28:29]
	v_fma_f64 v[20:21], s[2:3], v[106:107], v[44:45]
	v_add_f64 v[190:191], v[190:191], v[192:193]
	v_mul_f64 v[196:197], v[36:37], s[6:7]
	v_fma_f64 v[18:19], v[22:23], v[40:41], -v[16:17]
	v_fma_f64 v[16:17], s[8:9], v[102:103], v[42:43]
	v_add_f64 v[20:21], v[20:21], v[190:191]
	v_mul_f64 v[24:25], v[40:41], v[24:25]
	v_mul_f64 v[194:195], v[34:35], s[8:9]
	v_fma_f64 v[212:213], s[40:41], v[148:149], v[196:197]
	v_add_f64 v[20:21], v[16:17], v[20:21]
	v_fmac_f64_e32 v[24:25], v[22:23], v[14:15]
	v_mul_f64 v[192:193], v[32:33], s[0:1]
	v_fma_f64 v[210:211], s[28:29], v[140:141], v[194:195]
	v_add_f64 v[212:213], v[4:5], v[212:213]
	v_mul_f64 v[16:17], v[20:21], v[24:25]
	v_mul_f64 v[14:15], v[38:39], v[24:25]
	v_mul_f64 v[190:191], v[30:31], s[4:5]
	v_fma_f64 v[24:25], s[12:13], v[138:139], v[192:193]
	v_add_f64 v[210:211], v[210:211], v[212:213]
	v_mul_f64 v[40:41], v[28:29], s[10:11]
	v_fma_f64 v[22:23], s[36:37], v[134:135], v[190:191]
	v_add_f64 v[24:25], v[24:25], v[210:211]
	v_fmac_f64_e32 v[16:17], v[38:39], v[18:19]
	v_fma_f64 v[14:15], v[20:21], v[18:19], -v[14:15]
	v_mul_f64 v[38:39], v[26:27], s[2:3]
	v_fma_f64 v[20:21], s[30:31], v[132:133], v[40:41]
	v_add_f64 v[22:23], v[22:23], v[24:25]
	v_fma_f64 v[18:19], s[20:21], v[128:129], v[38:39]
	v_add_f64 v[20:21], v[20:21], v[22:23]
	v_add_u32_e32 v1, v1, v61
	v_add_f64 v[22:23], v[18:19], v[20:21]
	v_and_b32_e32 v18, 63, v1
	v_lshl_add_u32 v18, v18, 4, 0
	ds_read_b128 v[210:213], v18 offset:32448
	v_lshrrev_b32_e32 v18, 2, v1
	v_and_b32_e32 v18, 0x3f0, v18
	v_add_u32_e32 v18, s19, v18
	ds_read_b128 v[214:217], v18 offset:1024
	v_lshrrev_b32_e32 v18, 8, v1
	v_add_u32_e32 v1, v1, v61
	v_and_b32_e32 v58, 63, v1
	v_lshl_add_u32 v58, v58, 4, 0
	s_waitcnt lgkmcnt(0)
	v_mul_f64 v[24:25], v[212:213], v[216:217]
	v_mul_f64 v[222:223], v[210:211], v[216:217]
	v_fma_f64 v[24:25], v[210:211], v[214:215], -v[24:25]
	v_fmac_f64_e32 v[222:223], v[212:213], v[214:215]
	ds_read_b128 v[214:217], v58 offset:32448
	v_lshrrev_b32_e32 v58, 2, v1
	v_and_b32_e32 v18, 0x3f0, v18
	v_and_b32_e32 v58, 0x3f0, v58
	v_add_u32_e32 v18, s19, v18
	v_add_u32_e32 v58, s19, v58
	ds_read_b128 v[18:21], v18 offset:2048
	ds_read_b128 v[218:221], v58 offset:1024
	v_add_u32_e32 v58, v1, v61
	v_and_b32_e32 v59, 63, v58
	v_lshl_add_u32 v59, v59, 4, 0
	ds_read_b128 v[224:227], v59 offset:32448
	v_lshrrev_b32_e32 v59, 2, v58
	v_and_b32_e32 v59, 0x3f0, v59
	v_add_u32_e32 v59, s19, v59
	v_add_u32_e32 v244, v58, v61
	ds_read_b128 v[228:231], v59 offset:1024
	v_and_b32_e32 v59, 63, v244
	s_waitcnt lgkmcnt(2)
	v_mul_f64 v[232:233], v[216:217], v[220:221]
	v_mul_f64 v[242:243], v[214:215], v[220:221]
	v_lshl_add_u32 v59, v59, 4, 0
	v_fma_f64 v[232:233], v[214:215], v[218:219], -v[232:233]
	v_fmac_f64_e32 v[242:243], v[216:217], v[218:219]
	ds_read_b128 v[218:221], v59 offset:32448
	v_lshrrev_b32_e32 v59, 2, v244
	v_and_b32_e32 v59, 0x3f0, v59
	v_add_u32_e32 v59, s19, v59
	ds_read_b128 v[238:241], v59 offset:1024
	s_waitcnt lgkmcnt(2)
	v_mul_f64 v[214:215], v[226:227], v[230:231]
	v_fma_f64 v[246:247], v[224:225], v[228:229], -v[214:215]
	v_mul_f64 v[230:231], v[224:225], v[230:231]
	v_fmac_f64_e32 v[230:231], v[226:227], v[228:229]
	s_waitcnt lgkmcnt(0)
	v_mul_f64 v[236:237], v[218:219], v[240:241]
	v_mul_f64 v[224:225], v[220:221], v[240:241]
	v_fmac_f64_e32 v[236:237], v[220:221], v[238:239]
	v_mul_f64 v[220:221], v[208:209], s[26:27]
	v_fma_f64 v[234:235], v[218:219], v[238:239], -v[224:225]
	v_mul_f64 v[218:219], v[206:207], s[38:39]
	v_fma_f64 v[226:227], s[6:7], v[118:119], v[220:221]
	v_mul_f64 v[216:217], v[204:205], s[34:35]
	v_fma_f64 v[224:225], s[8:9], v[110:111], v[218:219]
	v_add_f64 v[226:227], v[2:3], v[226:227]
	v_mul_f64 v[214:215], v[202:203], s[22:23]
	v_add_f64 v[224:225], v[224:225], v[226:227]
	v_fma_f64 v[226:227], s[0:1], v[120:121], v[216:217]
	v_mul_f64 v[212:213], v[200:201], s[44:45]
	v_add_f64 v[224:225], v[226:227], v[224:225]
	v_fma_f64 v[226:227], s[4:5], v[112:113], v[214:215]
	;; [unrolled: 3-line block ×3, first 2 shown]
	v_add_f64 v[224:225], v[226:227], v[224:225]
	v_fma_f64 v[226:227], s[2:3], v[102:103], v[210:211]
	v_add_f64 v[224:225], v[226:227], v[224:225]
	v_mul_f64 v[226:227], v[222:223], v[20:21]
	v_fma_f64 v[226:227], v[18:19], v[24:25], -v[226:227]
	v_mul_f64 v[24:25], v[24:25], v[20:21]
	v_lshrrev_b32_e32 v1, 8, v1
	v_fmac_f64_e32 v[24:25], v[18:19], v[222:223]
	v_and_b32_e32 v1, 0x3f0, v1
	v_mul_f64 v[20:21], v[224:225], v[24:25]
	v_add_u32_e32 v1, s19, v1
	v_fmac_f64_e32 v[20:21], v[22:23], v[226:227]
	v_mul_f64 v[18:19], v[22:23], v[24:25]
	ds_read_b128 v[22:25], v1 offset:2048
	v_lshrrev_b32_e32 v1, 8, v58
	v_and_b32_e32 v1, 0x3f0, v1
	v_add_u32_e32 v1, s19, v1
	v_fma_f64 v[18:19], v[224:225], v[226:227], -v[18:19]
	s_waitcnt lgkmcnt(0)
	v_mul_f64 v[222:223], v[242:243], v[24:25]
	v_fma_f64 v[248:249], v[22:23], v[232:233], -v[222:223]
	ds_read_b128 v[222:225], v1 offset:2048
	v_mul_f64 v[24:25], v[232:233], v[24:25]
	v_fmac_f64_e32 v[24:25], v[22:23], v[242:243]
	v_mul_f64 v[252:253], v[36:37], s[8:9]
	v_mul_f64 v[242:243], v[34:35], s[4:5]
	s_waitcnt lgkmcnt(0)
	v_mul_f64 v[22:23], v[230:231], v[224:225]
	v_fma_f64 v[250:251], v[222:223], v[246:247], -v[22:23]
	v_mul_f64 v[246:247], v[246:247], v[224:225]
	v_fmac_f64_e32 v[246:247], v[222:223], v[230:231]
	v_fma_f64 v[222:223], s[38:39], v[148:149], v[252:253]
	v_mul_f64 v[240:241], v[32:33], s[2:3]
	v_fma_f64 v[22:23], s[22:23], v[140:141], v[242:243]
	v_add_f64 v[222:223], v[4:5], v[222:223]
	v_mul_f64 v[238:239], v[30:31], s[10:11]
	v_add_f64 v[22:23], v[22:23], v[222:223]
	v_fma_f64 v[222:223], s[42:43], v[138:139], v[240:241]
	v_add_f64 v[22:23], v[222:223], v[22:23]
	v_fma_f64 v[222:223], s[30:31], v[134:135], v[238:239]
	v_mul_f64 v[254:255], v[28:29], s[0:1]
	v_add_f64 v[22:23], v[222:223], v[22:23]
	v_fma_f64 v[222:223], s[12:13], v[132:133], v[254:255]
	v_mul_f64 v[58:59], v[26:27], s[6:7]
	v_add_f64 v[22:23], v[222:223], v[22:23]
	v_fma_f64 v[222:223], s[40:41], v[128:129], v[58:59]
	v_add_f64 v[162:163], v[222:223], v[22:23]
	v_mul_f64 v[222:223], v[208:209], s[28:29]
	v_fma_f64 v[22:23], s[8:9], v[118:119], v[222:223]
	v_mul_f64 v[224:225], v[206:207], s[36:37]
	v_add_f64 v[22:23], v[2:3], v[22:23]
	v_fma_f64 v[226:227], s[4:5], v[110:111], v[224:225]
	v_add_f64 v[22:23], v[226:227], v[22:23]
	v_mul_f64 v[226:227], v[204:205], s[20:21]
	v_fma_f64 v[228:229], s[2:3], v[120:121], v[226:227]
	v_add_f64 v[22:23], v[228:229], v[22:23]
	v_mul_f64 v[228:229], v[202:203], s[44:45]
	;; [unrolled: 3-line block ×5, first 2 shown]
	v_mul_f64 v[36:37], v[36:37], s[10:11]
	v_mul_f64 v[24:25], v[22:23], v[24:25]
	v_fma_f64 v[22:23], v[22:23], v[248:249], -v[104:105]
	v_mul_f64 v[34:35], v[34:35], s[0:1]
	v_fma_f64 v[104:105], s[44:45], v[148:149], v[36:37]
	v_fmac_f64_e32 v[24:25], v[162:163], v[248:249]
	v_add_f64 v[104:105], v[4:5], v[104:105]
	v_fma_f64 v[162:163], s[12:13], v[140:141], v[34:35]
	v_mul_f64 v[32:33], v[32:33], s[8:9]
	v_add_f64 v[104:105], v[162:163], v[104:105]
	v_fma_f64 v[162:163], s[38:39], v[138:139], v[32:33]
	v_mul_f64 v[30:31], v[30:31], s[2:3]
	v_add_f64 v[104:105], v[162:163], v[104:105]
	v_fma_f64 v[162:163], s[20:21], v[134:135], v[30:31]
	v_add_f64 v[104:105], v[162:163], v[104:105]
	v_mul_f64 v[162:163], v[28:29], s[6:7]
	v_fmac_f64_e32 v[36:37], s[30:31], v[148:149]
	v_fma_f64 v[28:29], s[40:41], v[132:133], v[162:163]
	v_fmac_f64_e32 v[34:35], s[34:35], v[140:141]
	v_add_f64 v[36:37], v[4:5], v[36:37]
	v_add_f64 v[28:29], v[28:29], v[104:105]
	v_mul_f64 v[104:105], v[26:27], s[4:5]
	v_add_f64 v[34:35], v[34:35], v[36:37]
	v_fmac_f64_e32 v[32:33], s[28:29], v[138:139]
	v_fma_f64 v[26:27], s[22:23], v[128:129], v[104:105]
	v_mul_f64 v[208:209], v[208:209], s[30:31]
	v_add_f64 v[32:33], v[32:33], v[34:35]
	v_fmac_f64_e32 v[30:31], s[42:43], v[134:135]
	v_add_f64 v[248:249], v[26:27], v[28:29]
	v_mul_f64 v[206:207], v[206:207], s[34:35]
	v_fma_f64 v[26:27], s[10:11], v[118:119], v[208:209]
	v_add_f64 v[30:31], v[30:31], v[32:33]
	v_fmac_f64_e32 v[162:163], s[26:27], v[132:133]
	v_add_f64 v[26:27], v[2:3], v[26:27]
	v_fma_f64 v[28:29], s[0:1], v[110:111], v[206:207]
	v_mul_f64 v[204:205], v[204:205], s[28:29]
	v_add_f64 v[30:31], v[162:163], v[30:31]
	v_fmac_f64_e32 v[104:105], s[36:37], v[128:129]
	v_add_f64 v[26:27], v[28:29], v[26:27]
	v_fma_f64 v[28:29], s[8:9], v[120:121], v[204:205]
	v_mul_f64 v[202:203], v[202:203], s[42:43]
	v_add_f64 v[34:35], v[104:105], v[30:31]
	v_fma_f64 v[30:31], v[118:119], s[10:11], -v[208:209]
	v_add_f64 v[26:27], v[28:29], v[26:27]
	v_fma_f64 v[28:29], s[2:3], v[112:113], v[202:203]
	v_mul_f64 v[200:201], v[200:201], s[26:27]
	v_mul_hi_u32 v36, v0, s25
	v_fma_f64 v[0:1], v[110:111], s[0:1], -v[206:207]
	v_add_f64 v[30:31], v[2:3], v[30:31]
	v_add_f64 v[26:27], v[28:29], v[26:27]
	v_fma_f64 v[28:29], s[6:7], v[106:107], v[200:201]
	v_mul_f64 v[164:165], v[198:199], s[36:37]
	v_add_f64 v[0:1], v[0:1], v[30:31]
	v_lshrrev_b32_e32 v30, 8, v244
	v_add_f64 v[26:27], v[28:29], v[26:27]
	v_fma_f64 v[28:29], s[4:5], v[102:103], v[164:165]
	v_and_b32_e32 v30, 0x3f0, v30
	v_add_f64 v[26:27], v[28:29], v[26:27]
	v_mul_f64 v[198:199], v[248:249], v[246:247]
	v_add_u32_e32 v32, s19, v30
	v_fma_f64 v[30:31], v[120:121], s[8:9], -v[204:205]
	v_mul_f64 v[28:29], v[26:27], v[246:247]
	v_fma_f64 v[26:27], v[26:27], v[250:251], -v[198:199]
	v_mul_lo_u32 v198, s18, v60
	s_mul_i32 s18, s48, s24
	v_add_f64 v[0:1], v[30:31], v[0:1]
	ds_read_b128 v[30:33], v32 offset:2048
	s_add_i32 s17, s18, s17
	s_movk_i32 s18, 0xa9
	v_mad_u32_u24 v199, v36, s18, v167
	v_fma_f64 v[36:37], v[112:113], s[2:3], -v[202:203]
	v_add_f64 v[0:1], v[36:37], v[0:1]
	v_fma_f64 v[162:163], v[106:107], s[6:7], -v[200:201]
	v_fma_f64 v[104:105], v[102:103], s[4:5], -v[164:165]
	v_add_f64 v[0:1], v[162:163], v[0:1]
	v_add_f64 v[0:1], v[104:105], v[0:1]
	s_waitcnt lgkmcnt(0)
	v_mul_f64 v[104:105], v[234:235], v[32:33]
	v_mul_f64 v[36:37], v[236:237], v[32:33]
	v_fmac_f64_e32 v[104:105], v[30:31], v[236:237]
	v_fma_f64 v[36:37], v[30:31], v[234:235], -v[36:37]
	v_mul_f64 v[30:31], v[34:35], v[104:105]
	v_fmac_f64_e32 v[252:253], s[28:29], v[148:149]
	v_mul_f64 v[32:33], v[0:1], v[104:105]
	v_fma_f64 v[30:31], v[0:1], v[36:37], -v[30:31]
	v_fmac_f64_e32 v[242:243], s[36:37], v[140:141]
	v_add_f64 v[0:1], v[4:5], v[252:253]
	v_fmac_f64_e32 v[240:241], s[20:21], v[138:139]
	v_add_f64 v[0:1], v[242:243], v[0:1]
	;; [unrolled: 2-line block ×5, first 2 shown]
	v_add_u32_e32 v60, v244, v61
	v_add_f64 v[0:1], v[58:59], v[0:1]
	v_lshrrev_b32_e32 v58, 2, v60
	v_fmac_f64_e32 v[32:33], v[34:35], v[36:37]
	v_and_b32_e32 v34, 63, v60
	v_and_b32_e32 v58, 0x3f0, v58
	v_lshl_add_u32 v34, v34, 4, 0
	v_add_u32_e32 v58, s19, v58
	ds_read_b128 v[34:37], v34 offset:32448
	ds_read_b128 v[200:203], v58 offset:1024
	v_lshrrev_b32_e32 v58, 8, v60
	v_and_b32_e32 v58, 0x3f0, v58
	v_add_u32_e32 v58, s19, v58
	ds_read_b128 v[204:207], v58 offset:2048
	s_waitcnt lgkmcnt(1)
	v_mul_f64 v[58:59], v[36:37], v[202:203]
	v_fma_f64 v[208:209], v[118:119], s[8:9], -v[222:223]
	v_fma_f64 v[58:59], v[34:35], v[200:201], -v[58:59]
	v_mul_f64 v[34:35], v[34:35], v[202:203]
	v_fma_f64 v[202:203], v[110:111], s[4:5], -v[224:225]
	v_add_f64 v[208:209], v[2:3], v[208:209]
	v_fmac_f64_e32 v[34:35], v[36:37], v[200:201]
	v_fma_f64 v[200:201], v[120:121], s[2:3], -v[226:227]
	v_add_f64 v[202:203], v[202:203], v[208:209]
	v_fma_f64 v[164:165], v[112:113], s[10:11], -v[228:229]
	v_add_f64 v[200:201], v[200:201], v[202:203]
	s_waitcnt lgkmcnt(0)
	v_mul_f64 v[36:37], v[34:35], v[206:207]
	v_fma_f64 v[162:163], v[106:107], s[0:1], -v[230:231]
	v_add_f64 v[164:165], v[164:165], v[200:201]
	v_fma_f64 v[104:105], v[204:205], v[58:59], -v[36:37]
	v_fma_f64 v[36:37], v[102:103], s[6:7], -v[232:233]
	v_add_f64 v[162:163], v[162:163], v[164:165]
	v_mul_f64 v[58:59], v[58:59], v[206:207]
	v_add_f64 v[162:163], v[36:37], v[162:163]
	v_fmac_f64_e32 v[58:59], v[204:205], v[34:35]
	v_mul_f64 v[36:37], v[162:163], v[58:59]
	v_fmac_f64_e32 v[36:37], v[0:1], v[104:105]
	v_mul_f64 v[0:1], v[0:1], v[58:59]
	v_fmac_f64_e32 v[196:197], s[26:27], v[148:149]
	v_fma_f64 v[34:35], v[162:163], v[104:105], -v[0:1]
	v_fmac_f64_e32 v[194:195], s[38:39], v[140:141]
	v_add_f64 v[0:1], v[4:5], v[196:197]
	v_fmac_f64_e32 v[192:193], s[34:35], v[138:139]
	v_add_f64 v[0:1], v[194:195], v[0:1]
	v_fmac_f64_e32 v[190:191], s[22:23], v[134:135]
	v_add_f64 v[0:1], v[192:193], v[0:1]
	v_fmac_f64_e32 v[40:41], s[44:45], v[132:133]
	v_add_f64 v[0:1], v[190:191], v[0:1]
	v_add_u32_e32 v60, v60, v61
	v_fmac_f64_e32 v[38:39], s[42:43], v[128:129]
	v_add_f64 v[0:1], v[40:41], v[0:1]
	v_lshrrev_b32_e32 v58, 2, v60
	v_add_f64 v[0:1], v[38:39], v[0:1]
	v_and_b32_e32 v38, 63, v60
	v_and_b32_e32 v58, 0x3f0, v58
	v_lshl_add_u32 v38, v38, 4, 0
	v_add_u32_e32 v58, s19, v58
	ds_read_b128 v[38:41], v38 offset:32448
	ds_read_b128 v[190:193], v58 offset:1024
	v_lshrrev_b32_e32 v58, 8, v60
	v_and_b32_e32 v58, 0x3f0, v58
	v_add_u32_e32 v58, s19, v58
	ds_read_b128 v[194:197], v58 offset:2048
	s_waitcnt lgkmcnt(1)
	v_mul_f64 v[58:59], v[40:41], v[192:193]
	v_fma_f64 v[200:201], v[118:119], s[6:7], -v[220:221]
	v_fma_f64 v[58:59], v[38:39], v[190:191], -v[58:59]
	v_mul_f64 v[38:39], v[38:39], v[192:193]
	v_fma_f64 v[192:193], v[110:111], s[8:9], -v[218:219]
	v_add_f64 v[200:201], v[2:3], v[200:201]
	v_fmac_f64_e32 v[38:39], v[40:41], v[190:191]
	v_fma_f64 v[190:191], v[120:121], s[0:1], -v[216:217]
	v_add_f64 v[192:193], v[192:193], v[200:201]
	v_fma_f64 v[164:165], v[112:113], s[4:5], -v[214:215]
	v_add_f64 v[190:191], v[190:191], v[192:193]
	s_waitcnt lgkmcnt(0)
	v_mul_f64 v[40:41], v[38:39], v[196:197]
	v_fma_f64 v[162:163], v[106:107], s[10:11], -v[212:213]
	v_add_f64 v[164:165], v[164:165], v[190:191]
	v_fma_f64 v[104:105], v[194:195], v[58:59], -v[40:41]
	v_fma_f64 v[40:41], v[102:103], s[2:3], -v[210:211]
	v_add_f64 v[162:163], v[162:163], v[164:165]
	v_mul_f64 v[58:59], v[58:59], v[196:197]
	v_add_f64 v[162:163], v[40:41], v[162:163]
	v_fmac_f64_e32 v[58:59], v[194:195], v[38:39]
	v_mul_f64 v[40:41], v[162:163], v[58:59]
	v_fmac_f64_e32 v[40:41], v[0:1], v[104:105]
	v_mul_f64 v[0:1], v[0:1], v[58:59]
	v_fmac_f64_e32 v[188:189], s[22:23], v[148:149]
	v_fma_f64 v[38:39], v[162:163], v[104:105], -v[0:1]
	v_fmac_f64_e32 v[186:187], s[30:31], v[140:141]
	v_add_f64 v[0:1], v[4:5], v[188:189]
	v_fmac_f64_e32 v[184:185], s[40:41], v[138:139]
	v_add_f64 v[0:1], v[186:187], v[0:1]
	;; [unrolled: 2-line block ×3, first 2 shown]
	v_add_u32_e32 v60, v60, v61
	v_fmac_f64_e32 v[180:181], s[20:21], v[132:133]
	v_add_f64 v[0:1], v[182:183], v[0:1]
	v_and_b32_e32 v58, 63, v60
	v_fmac_f64_e32 v[178:179], s[28:29], v[128:129]
	v_add_f64 v[0:1], v[180:181], v[0:1]
	v_lshl_add_u32 v58, v58, 4, 0
	v_add_f64 v[0:1], v[178:179], v[0:1]
	ds_read_b128 v[178:181], v58 offset:32448
	v_lshrrev_b32_e32 v58, 2, v60
	v_and_b32_e32 v58, 0x3f0, v58
	v_add_u32_e32 v58, s19, v58
	ds_read_b128 v[182:185], v58 offset:1024
	v_lshrrev_b32_e32 v58, 8, v60
	v_and_b32_e32 v58, 0x3f0, v58
	v_add_u32_e32 v58, s19, v58
	ds_read_b128 v[186:189], v58 offset:2048
	v_fma_f64 v[164:165], v[112:113], s[0:1], -v[170:171]
	v_fma_f64 v[170:171], v[120:121], s[6:7], -v[172:173]
	;; [unrolled: 1-line block ×4, first 2 shown]
	v_add_f64 v[174:175], v[2:3], v[174:175]
	s_waitcnt lgkmcnt(1)
	v_mul_f64 v[104:105], v[178:179], v[184:185]
	v_add_f64 v[172:173], v[172:173], v[174:175]
	v_mul_f64 v[58:59], v[180:181], v[184:185]
	v_fmac_f64_e32 v[104:105], v[180:181], v[182:183]
	v_add_f64 v[170:171], v[170:171], v[172:173]
	v_fma_f64 v[58:59], v[178:179], v[182:183], -v[58:59]
	s_waitcnt lgkmcnt(0)
	v_mul_f64 v[162:163], v[104:105], v[188:189]
	v_fma_f64 v[44:45], v[106:107], s[2:3], -v[44:45]
	v_add_f64 v[164:165], v[164:165], v[170:171]
	v_fma_f64 v[162:163], v[186:187], v[58:59], -v[162:163]
	v_fma_f64 v[42:43], v[102:103], s[8:9], -v[42:43]
	v_add_f64 v[44:45], v[44:45], v[164:165]
	v_mul_f64 v[58:59], v[58:59], v[188:189]
	v_add_f64 v[42:43], v[42:43], v[44:45]
	v_fmac_f64_e32 v[58:59], v[186:187], v[104:105]
	v_mul_f64 v[44:45], v[42:43], v[58:59]
	v_fmac_f64_e32 v[44:45], v[0:1], v[162:163]
	v_mul_f64 v[0:1], v[0:1], v[58:59]
	v_fmac_f64_e32 v[156:157], s[20:21], v[148:149]
	v_fma_f64 v[42:43], v[42:43], v[162:163], -v[0:1]
	v_fmac_f64_e32 v[154:155], s[26:27], v[140:141]
	v_add_f64 v[0:1], v[4:5], v[156:157]
	v_fmac_f64_e32 v[152:153], s[30:31], v[138:139]
	v_add_f64 v[0:1], v[154:155], v[0:1]
	;; [unrolled: 2-line block ×4, first 2 shown]
	v_add_u32_e32 v60, v60, v61
	v_fmac_f64_e32 v[46:47], s[34:35], v[128:129]
	v_add_f64 v[0:1], v[48:49], v[0:1]
	v_lshrrev_b32_e32 v58, 2, v60
	v_add_f64 v[0:1], v[46:47], v[0:1]
	v_and_b32_e32 v46, 63, v60
	v_and_b32_e32 v58, 0x3f0, v58
	v_lshl_add_u32 v46, v46, 4, 0
	v_add_u32_e32 v58, s19, v58
	ds_read_b128 v[46:49], v46 offset:32448
	ds_read_b128 v[150:153], v58 offset:1024
	v_lshrrev_b32_e32 v58, 8, v60
	v_and_b32_e32 v58, 0x3f0, v58
	v_add_u32_e32 v58, s19, v58
	ds_read_b128 v[154:157], v58 offset:2048
	s_waitcnt lgkmcnt(1)
	v_mul_f64 v[58:59], v[48:49], v[152:153]
	v_fma_f64 v[58:59], v[46:47], v[150:151], -v[58:59]
	v_mul_f64 v[46:47], v[46:47], v[152:153]
	v_fma_f64 v[152:153], v[118:119], s[2:3], -v[168:169]
	v_fma_f64 v[50:51], v[110:111], s[6:7], -v[50:51]
	v_add_f64 v[152:153], v[2:3], v[152:153]
	v_fma_f64 v[52:53], v[120:121], s[10:11], -v[52:53]
	v_add_f64 v[50:51], v[50:51], v[152:153]
	v_fmac_f64_e32 v[46:47], v[48:49], v[150:151]
	v_fma_f64 v[54:55], v[112:113], s[8:9], -v[54:55]
	v_add_f64 v[50:51], v[52:53], v[50:51]
	s_waitcnt lgkmcnt(0)
	v_mul_f64 v[48:49], v[46:47], v[156:157]
	v_fma_f64 v[150:151], v[106:107], s[4:5], -v[160:161]
	v_add_f64 v[50:51], v[54:55], v[50:51]
	v_fma_f64 v[104:105], v[154:155], v[58:59], -v[48:49]
	v_fma_f64 v[48:49], v[102:103], s[0:1], -v[158:159]
	v_add_f64 v[50:51], v[150:151], v[50:51]
	v_mul_f64 v[52:53], v[58:59], v[156:157]
	v_add_f64 v[50:51], v[48:49], v[50:51]
	v_fmac_f64_e32 v[52:53], v[154:155], v[46:47]
	v_mul_f64 v[48:49], v[50:51], v[52:53]
	v_fmac_f64_e32 v[48:49], v[0:1], v[104:105]
	v_mul_f64 v[0:1], v[0:1], v[52:53]
	v_fma_f64 v[46:47], v[50:51], v[104:105], -v[0:1]
	v_add_u32_e32 v0, v60, v61
	v_and_b32_e32 v1, 63, v0
	v_lshl_add_u32 v1, v1, 4, 0
	ds_read_b128 v[150:153], v1 offset:32448
	v_lshrrev_b32_e32 v1, 2, v0
	v_and_b32_e32 v1, 0x3f0, v1
	v_add_u32_e32 v1, s19, v1
	v_lshrrev_b32_e32 v0, 8, v0
	ds_read_b128 v[154:157], v1 offset:1024
	v_and_b32_e32 v0, 0x3f0, v0
	v_add_u32_e32 v0, s19, v0
	ds_read_b128 v[158:161], v0 offset:2048
	v_fmac_f64_e32 v[146:147], s[12:13], v[148:149]
	v_fmac_f64_e32 v[144:145], s[20:21], v[140:141]
	v_add_f64 v[54:55], v[4:5], v[146:147]
	v_fmac_f64_e32 v[142:143], s[22:23], v[138:139]
	v_add_f64 v[54:55], v[144:145], v[54:55]
	s_waitcnt lgkmcnt(1)
	v_mul_f64 v[52:53], v[150:151], v[156:157]
	v_fmac_f64_e32 v[136:137], s[26:27], v[134:135]
	v_add_f64 v[54:55], v[142:143], v[54:55]
	v_mul_f64 v[0:1], v[152:153], v[156:157]
	v_fmac_f64_e32 v[52:53], v[152:153], v[154:155]
	v_fmac_f64_e32 v[130:131], s[28:29], v[132:133]
	v_add_f64 v[54:55], v[136:137], v[54:55]
	v_fma_f64 v[50:51], v[150:151], v[154:155], -v[0:1]
	s_waitcnt lgkmcnt(0)
	v_mul_f64 v[0:1], v[52:53], v[160:161]
	v_fmac_f64_e32 v[126:127], s[30:31], v[128:129]
	v_add_f64 v[54:55], v[130:131], v[54:55]
	v_fma_f64 v[0:1], v[158:159], v[50:51], -v[0:1]
	v_add_f64 v[60:61], v[126:127], v[54:55]
	v_mul_f64 v[126:127], v[50:51], v[160:161]
	v_accvgpr_read_b32 v51, a7
	v_accvgpr_read_b32 v50, a6
	v_fma_f64 v[104:105], v[118:119], s[0:1], -v[122:123]
	v_fma_f64 v[50:51], v[102:103], s[10:11], -v[50:51]
	;; [unrolled: 1-line block ×3, first 2 shown]
	v_add_f64 v[104:105], v[2:3], v[104:105]
	v_fma_f64 v[58:59], v[120:121], s[4:5], -v[124:125]
	v_add_f64 v[102:103], v[102:103], v[104:105]
	v_fma_f64 v[54:55], v[112:113], s[6:7], -v[116:117]
	v_add_f64 v[58:59], v[58:59], v[102:103]
	v_fmac_f64_e32 v[126:127], v[158:159], v[52:53]
	v_fma_f64 v[52:53], v[106:107], s[8:9], -v[108:109]
	v_add_f64 v[54:55], v[54:55], v[58:59]
	v_add_f64 v[52:53], v[52:53], v[54:55]
	;; [unrolled: 1-line block ×3, first 2 shown]
	v_mul_f64 v[104:105], v[126:127], v[50:51]
	v_mul_f64 v[52:53], v[126:127], v[60:61]
	v_fmac_f64_e32 v[104:105], v[0:1], v[60:61]
	v_fma_f64 v[102:103], v[0:1], v[50:51], -v[52:53]
	v_mul_lo_u32 v0, s16, v199
	v_add3_u32 v50, v198, v0, s17
	v_add_f64 v[0:1], v[4:5], v[100:101]
	v_mul_lo_u32 v4, v167, v166
	v_add_f64 v[0:1], v[0:1], v[96:97]
	v_and_b32_e32 v5, 63, v4
	v_add_f64 v[2:3], v[2:3], v[86:87]
	v_add_f64 v[0:1], v[0:1], v[94:95]
	v_lshl_add_u32 v5, v5, 4, 0
	v_add_f64 v[2:3], v[2:3], v[72:73]
	v_add_f64 v[0:1], v[0:1], v[90:91]
	ds_read_b128 v[58:61], v5 offset:32448
	v_lshrrev_b32_e32 v5, 2, v4
	v_add_f64 v[2:3], v[2:3], v[70:71]
	v_add_f64 v[0:1], v[0:1], v[82:83]
	v_and_b32_e32 v5, 0x3f0, v5
	v_add_f64 v[2:3], v[2:3], v[66:67]
	v_add_f64 v[0:1], v[0:1], v[76:77]
	v_add_u32_e32 v5, s19, v5
	v_lshrrev_b32_e32 v4, 8, v4
	v_add_f64 v[2:3], v[2:3], v[56:57]
	v_accvgpr_read_b32 v57, a3
	v_add_f64 v[0:1], v[0:1], v[78:79]
	ds_read_b128 v[76:79], v5 offset:1024
	v_and_b32_e32 v4, 0x3f0, v4
	v_accvgpr_read_b32 v56, a2
	v_add_u32_e32 v4, s19, v4
	v_add_f64 v[2:3], v[2:3], v[56:57]
	v_accvgpr_read_b32 v57, a1
	v_add_f64 v[0:1], v[0:1], v[80:81]
	ds_read_b128 v[80:83], v4 offset:2048
	v_accvgpr_read_b32 v56, a0
	v_add_f64 v[2:3], v[2:3], v[56:57]
	v_accvgpr_read_b32 v57, a5
	v_accvgpr_read_b32 v56, a4
	s_waitcnt lgkmcnt(1)
	v_mul_f64 v[54:55], v[58:59], v[78:79]
	v_add_f64 v[2:3], v[2:3], v[56:57]
	v_mul_f64 v[4:5], v[60:61], v[78:79]
	v_fmac_f64_e32 v[54:55], v[76:77], v[60:61]
	v_add_f64 v[2:3], v[2:3], v[62:63]
	v_add_f64 v[0:1], v[0:1], v[84:85]
	v_fma_f64 v[4:5], v[58:59], v[76:77], -v[4:5]
	s_waitcnt lgkmcnt(0)
	v_mul_f64 v[58:59], v[82:83], v[54:55]
	v_add_f64 v[2:3], v[2:3], v[64:65]
	v_add_f64 v[0:1], v[0:1], v[88:89]
	v_fma_f64 v[58:59], v[80:81], v[4:5], -v[58:59]
	v_add_f64 v[2:3], v[2:3], v[68:69]
	v_mul_f64 v[4:5], v[82:83], v[4:5]
	v_add_f64 v[0:1], v[0:1], v[92:93]
	v_add_f64 v[56:57], v[2:3], v[74:75]
	v_fmac_f64_e32 v[4:5], v[80:81], v[54:55]
	v_add_f64 v[0:1], v[0:1], v[98:99]
	v_mul_f64 v[2:3], v[56:57], v[4:5]
	v_mov_b32_e32 v51, 0
	v_fmac_f64_e32 v[2:3], v[0:1], v[58:59]
	v_mul_f64 v[0:1], v[0:1], v[4:5]
	v_lshl_add_u64 v[52:53], v[50:51], 4, s[14:15]
	v_fma_f64 v[0:1], v[56:57], v[58:59], -v[0:1]
	global_store_dwordx4 v[52:53], v[0:3], off
	v_fmac_f64_e32 v[28:29], v[248:249], v[250:251]
	s_nop 0
	v_add_u32_e32 v0, 13, v199
	v_mul_lo_u32 v0, s16, v0
	v_add3_u32 v50, v198, v0, s17
	v_lshl_add_u64 v[0:1], v[50:51], 4, s[14:15]
	global_store_dwordx4 v[0:1], v[102:105], off
	v_add_u32_e32 v0, 26, v199
	v_mul_lo_u32 v0, s16, v0
	v_add3_u32 v50, v198, v0, s17
	v_lshl_add_u64 v[0:1], v[50:51], 4, s[14:15]
	global_store_dwordx4 v[0:1], v[46:49], off
	;; [unrolled: 5-line block ×12, first 2 shown]
.LBB0_43:
	s_endpgm
	.section	.rodata,"a",@progbits
	.p2align	6, 0x0
	.amdhsa_kernel fft_rtc_fwd_len169_factors_13_13_wgs_156_tpt_13_dp_op_CI_CI_sbcc_twdbase6_3step_dirReg_intrinsicReadWrite
		.amdhsa_group_segment_fixed_size 0
		.amdhsa_private_segment_fixed_size 0
		.amdhsa_kernarg_size 112
		.amdhsa_user_sgpr_count 2
		.amdhsa_user_sgpr_dispatch_ptr 0
		.amdhsa_user_sgpr_queue_ptr 0
		.amdhsa_user_sgpr_kernarg_segment_ptr 1
		.amdhsa_user_sgpr_dispatch_id 0
		.amdhsa_user_sgpr_kernarg_preload_length 0
		.amdhsa_user_sgpr_kernarg_preload_offset 0
		.amdhsa_user_sgpr_private_segment_size 0
		.amdhsa_uses_dynamic_stack 0
		.amdhsa_enable_private_segment 0
		.amdhsa_system_sgpr_workgroup_id_x 1
		.amdhsa_system_sgpr_workgroup_id_y 0
		.amdhsa_system_sgpr_workgroup_id_z 0
		.amdhsa_system_sgpr_workgroup_info 0
		.amdhsa_system_vgpr_workitem_id 0
		.amdhsa_next_free_vgpr 264
		.amdhsa_next_free_sgpr 54
		.amdhsa_accum_offset 256
		.amdhsa_reserve_vcc 1
		.amdhsa_float_round_mode_32 0
		.amdhsa_float_round_mode_16_64 0
		.amdhsa_float_denorm_mode_32 3
		.amdhsa_float_denorm_mode_16_64 3
		.amdhsa_dx10_clamp 1
		.amdhsa_ieee_mode 1
		.amdhsa_fp16_overflow 0
		.amdhsa_tg_split 0
		.amdhsa_exception_fp_ieee_invalid_op 0
		.amdhsa_exception_fp_denorm_src 0
		.amdhsa_exception_fp_ieee_div_zero 0
		.amdhsa_exception_fp_ieee_overflow 0
		.amdhsa_exception_fp_ieee_underflow 0
		.amdhsa_exception_fp_ieee_inexact 0
		.amdhsa_exception_int_div_zero 0
	.end_amdhsa_kernel
	.text
.Lfunc_end0:
	.size	fft_rtc_fwd_len169_factors_13_13_wgs_156_tpt_13_dp_op_CI_CI_sbcc_twdbase6_3step_dirReg_intrinsicReadWrite, .Lfunc_end0-fft_rtc_fwd_len169_factors_13_13_wgs_156_tpt_13_dp_op_CI_CI_sbcc_twdbase6_3step_dirReg_intrinsicReadWrite
                                        ; -- End function
	.section	.AMDGPU.csdata,"",@progbits
; Kernel info:
; codeLenInByte = 12772
; NumSgprs: 60
; NumVgprs: 256
; NumAgprs: 8
; TotalNumVgprs: 264
; ScratchSize: 0
; MemoryBound: 0
; FloatMode: 240
; IeeeMode: 1
; LDSByteSize: 0 bytes/workgroup (compile time only)
; SGPRBlocks: 7
; VGPRBlocks: 32
; NumSGPRsForWavesPerEU: 60
; NumVGPRsForWavesPerEU: 264
; AccumOffset: 256
; Occupancy: 1
; WaveLimiterHint : 1
; COMPUTE_PGM_RSRC2:SCRATCH_EN: 0
; COMPUTE_PGM_RSRC2:USER_SGPR: 2
; COMPUTE_PGM_RSRC2:TRAP_HANDLER: 0
; COMPUTE_PGM_RSRC2:TGID_X_EN: 1
; COMPUTE_PGM_RSRC2:TGID_Y_EN: 0
; COMPUTE_PGM_RSRC2:TGID_Z_EN: 0
; COMPUTE_PGM_RSRC2:TIDIG_COMP_CNT: 0
; COMPUTE_PGM_RSRC3_GFX90A:ACCUM_OFFSET: 63
; COMPUTE_PGM_RSRC3_GFX90A:TG_SPLIT: 0
	.text
	.p2alignl 6, 3212836864
	.fill 256, 4, 3212836864
	.type	__hip_cuid_373b45367823e3de,@object ; @__hip_cuid_373b45367823e3de
	.section	.bss,"aw",@nobits
	.globl	__hip_cuid_373b45367823e3de
__hip_cuid_373b45367823e3de:
	.byte	0                               ; 0x0
	.size	__hip_cuid_373b45367823e3de, 1

	.ident	"AMD clang version 19.0.0git (https://github.com/RadeonOpenCompute/llvm-project roc-6.4.0 25133 c7fe45cf4b819c5991fe208aaa96edf142730f1d)"
	.section	".note.GNU-stack","",@progbits
	.addrsig
	.addrsig_sym __hip_cuid_373b45367823e3de
	.amdgpu_metadata
---
amdhsa.kernels:
  - .agpr_count:     8
    .args:
      - .actual_access:  read_only
        .address_space:  global
        .offset:         0
        .size:           8
        .value_kind:     global_buffer
      - .address_space:  global
        .offset:         8
        .size:           8
        .value_kind:     global_buffer
      - .offset:         16
        .size:           8
        .value_kind:     by_value
      - .actual_access:  read_only
        .address_space:  global
        .offset:         24
        .size:           8
        .value_kind:     global_buffer
      - .actual_access:  read_only
        .address_space:  global
        .offset:         32
        .size:           8
        .value_kind:     global_buffer
      - .actual_access:  read_only
        .address_space:  global
        .offset:         40
        .size:           8
        .value_kind:     global_buffer
      - .offset:         48
        .size:           8
        .value_kind:     by_value
      - .actual_access:  read_only
        .address_space:  global
        .offset:         56
        .size:           8
        .value_kind:     global_buffer
      - .actual_access:  read_only
        .address_space:  global
        .offset:         64
        .size:           8
        .value_kind:     global_buffer
      - .offset:         72
        .size:           4
        .value_kind:     by_value
      - .actual_access:  read_only
        .address_space:  global
        .offset:         80
        .size:           8
        .value_kind:     global_buffer
      - .actual_access:  read_only
        .address_space:  global
        .offset:         88
        .size:           8
        .value_kind:     global_buffer
      - .actual_access:  read_only
        .address_space:  global
        .offset:         96
        .size:           8
        .value_kind:     global_buffer
      - .actual_access:  write_only
        .address_space:  global
        .offset:         104
        .size:           8
        .value_kind:     global_buffer
    .group_segment_fixed_size: 0
    .kernarg_segment_align: 8
    .kernarg_segment_size: 112
    .language:       OpenCL C
    .language_version:
      - 2
      - 0
    .max_flat_workgroup_size: 156
    .name:           fft_rtc_fwd_len169_factors_13_13_wgs_156_tpt_13_dp_op_CI_CI_sbcc_twdbase6_3step_dirReg_intrinsicReadWrite
    .private_segment_fixed_size: 0
    .sgpr_count:     60
    .sgpr_spill_count: 0
    .symbol:         fft_rtc_fwd_len169_factors_13_13_wgs_156_tpt_13_dp_op_CI_CI_sbcc_twdbase6_3step_dirReg_intrinsicReadWrite.kd
    .uniform_work_group_size: 1
    .uses_dynamic_stack: false
    .vgpr_count:     264
    .vgpr_spill_count: 0
    .wavefront_size: 64
amdhsa.target:   amdgcn-amd-amdhsa--gfx950
amdhsa.version:
  - 1
  - 2
...

	.end_amdgpu_metadata
